;; amdgpu-corpus repo=ROCm/rocFFT kind=compiled arch=gfx906 opt=O3
	.text
	.amdgcn_target "amdgcn-amd-amdhsa--gfx906"
	.amdhsa_code_object_version 6
	.protected	fft_rtc_back_len1210_factors_2_5_11_11_wgs_110_tpt_110_halfLds_dp_op_CI_CI_sbrr_dirReg ; -- Begin function fft_rtc_back_len1210_factors_2_5_11_11_wgs_110_tpt_110_halfLds_dp_op_CI_CI_sbrr_dirReg
	.globl	fft_rtc_back_len1210_factors_2_5_11_11_wgs_110_tpt_110_halfLds_dp_op_CI_CI_sbrr_dirReg
	.p2align	8
	.type	fft_rtc_back_len1210_factors_2_5_11_11_wgs_110_tpt_110_halfLds_dp_op_CI_CI_sbrr_dirReg,@function
fft_rtc_back_len1210_factors_2_5_11_11_wgs_110_tpt_110_halfLds_dp_op_CI_CI_sbrr_dirReg: ; @fft_rtc_back_len1210_factors_2_5_11_11_wgs_110_tpt_110_halfLds_dp_op_CI_CI_sbrr_dirReg
; %bb.0:
	s_load_dwordx4 s[16:19], s[4:5], 0x18
	s_load_dwordx4 s[12:15], s[4:5], 0x0
	;; [unrolled: 1-line block ×3, first 2 shown]
	v_mul_u32_u24_e32 v1, 0x254, v0
	v_add_u32_sdwa v6, s6, v1 dst_sel:DWORD dst_unused:UNUSED_PAD src0_sel:DWORD src1_sel:WORD_1
	s_waitcnt lgkmcnt(0)
	s_load_dwordx2 s[2:3], s[16:17], 0x0
	s_load_dwordx2 s[20:21], s[18:19], 0x0
	v_cmp_lt_u64_e64 s[0:1], s[14:15], 2
	v_mov_b32_e32 v1, 0
	v_mov_b32_e32 v4, 0
	;; [unrolled: 1-line block ×3, first 2 shown]
	s_and_b64 vcc, exec, s[0:1]
	v_mov_b32_e32 v5, 0
	s_cbranch_vccnz .LBB0_8
; %bb.1:
	s_load_dwordx2 s[0:1], s[4:5], 0x10
	s_add_u32 s6, s18, 8
	s_addc_u32 s7, s19, 0
	s_add_u32 s22, s16, 8
	v_mov_b32_e32 v4, 0
	s_addc_u32 s23, s17, 0
	v_mov_b32_e32 v5, 0
	s_waitcnt lgkmcnt(0)
	s_add_u32 s24, s0, 8
	v_mov_b32_e32 v75, v5
	s_addc_u32 s25, s1, 0
	s_mov_b64 s[26:27], 1
	v_mov_b32_e32 v74, v4
.LBB0_2:                                ; =>This Inner Loop Header: Depth=1
	s_load_dwordx2 s[28:29], s[24:25], 0x0
                                        ; implicit-def: $vgpr76_vgpr77
	s_waitcnt lgkmcnt(0)
	v_or_b32_e32 v2, s29, v7
	v_cmp_ne_u64_e32 vcc, 0, v[1:2]
	s_and_saveexec_b64 s[0:1], vcc
	s_xor_b64 s[30:31], exec, s[0:1]
	s_cbranch_execz .LBB0_4
; %bb.3:                                ;   in Loop: Header=BB0_2 Depth=1
	v_cvt_f32_u32_e32 v2, s28
	v_cvt_f32_u32_e32 v3, s29
	s_sub_u32 s0, 0, s28
	s_subb_u32 s1, 0, s29
	v_mac_f32_e32 v2, 0x4f800000, v3
	v_rcp_f32_e32 v2, v2
	v_mul_f32_e32 v2, 0x5f7ffffc, v2
	v_mul_f32_e32 v3, 0x2f800000, v2
	v_trunc_f32_e32 v3, v3
	v_mac_f32_e32 v2, 0xcf800000, v3
	v_cvt_u32_f32_e32 v3, v3
	v_cvt_u32_f32_e32 v2, v2
	v_mul_lo_u32 v8, s0, v3
	v_mul_hi_u32 v9, s0, v2
	v_mul_lo_u32 v11, s1, v2
	v_mul_lo_u32 v10, s0, v2
	v_add_u32_e32 v8, v9, v8
	v_add_u32_e32 v8, v8, v11
	v_mul_hi_u32 v9, v2, v10
	v_mul_lo_u32 v11, v2, v8
	v_mul_hi_u32 v13, v2, v8
	v_mul_hi_u32 v12, v3, v10
	v_mul_lo_u32 v10, v3, v10
	v_mul_hi_u32 v14, v3, v8
	v_add_co_u32_e32 v9, vcc, v9, v11
	v_addc_co_u32_e32 v11, vcc, 0, v13, vcc
	v_mul_lo_u32 v8, v3, v8
	v_add_co_u32_e32 v9, vcc, v9, v10
	v_addc_co_u32_e32 v9, vcc, v11, v12, vcc
	v_addc_co_u32_e32 v10, vcc, 0, v14, vcc
	v_add_co_u32_e32 v8, vcc, v9, v8
	v_addc_co_u32_e32 v9, vcc, 0, v10, vcc
	v_add_co_u32_e32 v2, vcc, v2, v8
	v_addc_co_u32_e32 v3, vcc, v3, v9, vcc
	v_mul_lo_u32 v8, s0, v3
	v_mul_hi_u32 v9, s0, v2
	v_mul_lo_u32 v10, s1, v2
	v_mul_lo_u32 v11, s0, v2
	v_add_u32_e32 v8, v9, v8
	v_add_u32_e32 v8, v8, v10
	v_mul_lo_u32 v12, v2, v8
	v_mul_hi_u32 v13, v2, v11
	v_mul_hi_u32 v14, v2, v8
	;; [unrolled: 1-line block ×3, first 2 shown]
	v_mul_lo_u32 v11, v3, v11
	v_mul_hi_u32 v9, v3, v8
	v_add_co_u32_e32 v12, vcc, v13, v12
	v_addc_co_u32_e32 v13, vcc, 0, v14, vcc
	v_mul_lo_u32 v8, v3, v8
	v_add_co_u32_e32 v11, vcc, v12, v11
	v_addc_co_u32_e32 v10, vcc, v13, v10, vcc
	v_addc_co_u32_e32 v9, vcc, 0, v9, vcc
	v_add_co_u32_e32 v8, vcc, v10, v8
	v_addc_co_u32_e32 v9, vcc, 0, v9, vcc
	v_add_co_u32_e32 v8, vcc, v2, v8
	v_addc_co_u32_e32 v9, vcc, v3, v9, vcc
	v_mad_u64_u32 v[2:3], s[0:1], v6, v9, 0
	v_mul_hi_u32 v10, v6, v8
	v_add_co_u32_e32 v10, vcc, v10, v2
	v_addc_co_u32_e32 v11, vcc, 0, v3, vcc
	v_mad_u64_u32 v[2:3], s[0:1], v7, v8, 0
	v_mad_u64_u32 v[8:9], s[0:1], v7, v9, 0
	v_add_co_u32_e32 v2, vcc, v10, v2
	v_addc_co_u32_e32 v2, vcc, v11, v3, vcc
	v_addc_co_u32_e32 v3, vcc, 0, v9, vcc
	v_add_co_u32_e32 v8, vcc, v2, v8
	v_addc_co_u32_e32 v9, vcc, 0, v3, vcc
	v_mul_lo_u32 v10, s29, v8
	v_mul_lo_u32 v11, s28, v9
	v_mad_u64_u32 v[2:3], s[0:1], s28, v8, 0
	v_add3_u32 v3, v3, v11, v10
	v_sub_u32_e32 v10, v7, v3
	v_mov_b32_e32 v11, s29
	v_sub_co_u32_e32 v2, vcc, v6, v2
	v_subb_co_u32_e64 v10, s[0:1], v10, v11, vcc
	v_subrev_co_u32_e64 v11, s[0:1], s28, v2
	v_subbrev_co_u32_e64 v10, s[0:1], 0, v10, s[0:1]
	v_cmp_le_u32_e64 s[0:1], s29, v10
	v_cndmask_b32_e64 v12, 0, -1, s[0:1]
	v_cmp_le_u32_e64 s[0:1], s28, v11
	v_cndmask_b32_e64 v11, 0, -1, s[0:1]
	v_cmp_eq_u32_e64 s[0:1], s29, v10
	v_cndmask_b32_e64 v10, v12, v11, s[0:1]
	v_add_co_u32_e64 v11, s[0:1], 2, v8
	v_addc_co_u32_e64 v12, s[0:1], 0, v9, s[0:1]
	v_add_co_u32_e64 v13, s[0:1], 1, v8
	v_addc_co_u32_e64 v14, s[0:1], 0, v9, s[0:1]
	v_subb_co_u32_e32 v3, vcc, v7, v3, vcc
	v_cmp_ne_u32_e64 s[0:1], 0, v10
	v_cmp_le_u32_e32 vcc, s29, v3
	v_cndmask_b32_e64 v10, v14, v12, s[0:1]
	v_cndmask_b32_e64 v12, 0, -1, vcc
	v_cmp_le_u32_e32 vcc, s28, v2
	v_cndmask_b32_e64 v2, 0, -1, vcc
	v_cmp_eq_u32_e32 vcc, s29, v3
	v_cndmask_b32_e32 v2, v12, v2, vcc
	v_cmp_ne_u32_e32 vcc, 0, v2
	v_cndmask_b32_e64 v2, v13, v11, s[0:1]
	v_cndmask_b32_e32 v77, v9, v10, vcc
	v_cndmask_b32_e32 v76, v8, v2, vcc
.LBB0_4:                                ;   in Loop: Header=BB0_2 Depth=1
	s_andn2_saveexec_b64 s[0:1], s[30:31]
	s_cbranch_execz .LBB0_6
; %bb.5:                                ;   in Loop: Header=BB0_2 Depth=1
	v_cvt_f32_u32_e32 v2, s28
	s_sub_i32 s30, 0, s28
	v_mov_b32_e32 v77, v1
	v_rcp_iflag_f32_e32 v2, v2
	v_mul_f32_e32 v2, 0x4f7ffffe, v2
	v_cvt_u32_f32_e32 v2, v2
	v_mul_lo_u32 v3, s30, v2
	v_mul_hi_u32 v3, v2, v3
	v_add_u32_e32 v2, v2, v3
	v_mul_hi_u32 v2, v6, v2
	v_mul_lo_u32 v3, v2, s28
	v_add_u32_e32 v8, 1, v2
	v_sub_u32_e32 v3, v6, v3
	v_subrev_u32_e32 v9, s28, v3
	v_cmp_le_u32_e32 vcc, s28, v3
	v_cndmask_b32_e32 v3, v3, v9, vcc
	v_cndmask_b32_e32 v2, v2, v8, vcc
	v_add_u32_e32 v8, 1, v2
	v_cmp_le_u32_e32 vcc, s28, v3
	v_cndmask_b32_e32 v76, v2, v8, vcc
.LBB0_6:                                ;   in Loop: Header=BB0_2 Depth=1
	s_or_b64 exec, exec, s[0:1]
	v_mul_lo_u32 v8, v77, s28
	v_mul_lo_u32 v9, v76, s29
	v_mad_u64_u32 v[2:3], s[0:1], v76, s28, 0
	s_load_dwordx2 s[0:1], s[22:23], 0x0
	s_load_dwordx2 s[28:29], s[6:7], 0x0
	v_add3_u32 v3, v3, v9, v8
	v_sub_co_u32_e32 v2, vcc, v6, v2
	v_subb_co_u32_e32 v3, vcc, v7, v3, vcc
	s_waitcnt lgkmcnt(0)
	v_mul_lo_u32 v6, s0, v3
	v_mul_lo_u32 v7, s1, v2
	v_mad_u64_u32 v[4:5], s[0:1], s0, v2, v[4:5]
	v_mul_lo_u32 v3, s28, v3
	v_mul_lo_u32 v8, s29, v2
	v_mad_u64_u32 v[74:75], s[0:1], s28, v2, v[74:75]
	s_add_u32 s26, s26, 1
	s_addc_u32 s27, s27, 0
	s_add_u32 s6, s6, 8
	v_add3_u32 v75, v8, v75, v3
	s_addc_u32 s7, s7, 0
	v_mov_b32_e32 v2, s14
	s_add_u32 s22, s22, 8
	v_mov_b32_e32 v3, s15
	s_addc_u32 s23, s23, 0
	v_cmp_ge_u64_e32 vcc, s[26:27], v[2:3]
	s_add_u32 s24, s24, 8
	v_add3_u32 v5, v7, v5, v6
	s_addc_u32 s25, s25, 0
	s_cbranch_vccnz .LBB0_9
; %bb.7:                                ;   in Loop: Header=BB0_2 Depth=1
	v_mov_b32_e32 v6, v76
	v_mov_b32_e32 v7, v77
	s_branch .LBB0_2
.LBB0_8:
	v_mov_b32_e32 v75, v5
	v_mov_b32_e32 v77, v7
	;; [unrolled: 1-line block ×4, first 2 shown]
.LBB0_9:
	s_load_dwordx2 s[0:1], s[4:5], 0x28
	s_lshl_b64 s[14:15], s[14:15], 3
	s_add_u32 s4, s18, s14
	s_addc_u32 s5, s19, s15
                                        ; implicit-def: $sgpr18
                                        ; implicit-def: $vgpr78
                                        ; implicit-def: $vgpr83
                                        ; implicit-def: $vgpr80
                                        ; implicit-def: $vgpr81
                                        ; implicit-def: $vgpr82
	s_waitcnt lgkmcnt(0)
	v_cmp_gt_u64_e32 vcc, s[0:1], v[76:77]
	v_cmp_le_u64_e64 s[0:1], s[0:1], v[76:77]
	s_and_saveexec_b64 s[6:7], s[0:1]
	s_xor_b64 s[0:1], exec, s[6:7]
; %bb.10:
	s_mov_b32 s6, 0x253c826
	v_mul_hi_u32 v1, v0, s6
	s_mov_b32 s18, 0
                                        ; implicit-def: $vgpr4_vgpr5
	v_mul_u32_u24_e32 v1, 0x6e, v1
	v_sub_u32_e32 v78, v0, v1
	v_add_u32_e32 v83, 0x6e, v78
	v_add_u32_e32 v80, 0xdc, v78
	;; [unrolled: 1-line block ×4, first 2 shown]
                                        ; implicit-def: $vgpr0
; %bb.11:
	s_or_saveexec_b64 s[6:7], s[0:1]
	s_load_dwordx2 s[4:5], s[4:5], 0x0
	v_mov_b32_e32 v104, s18
                                        ; implicit-def: $vgpr72_vgpr73
                                        ; implicit-def: $vgpr68_vgpr69
                                        ; implicit-def: $vgpr2_vgpr3
                                        ; implicit-def: $vgpr36_vgpr37
                                        ; implicit-def: $vgpr52_vgpr53
                                        ; implicit-def: $vgpr40_vgpr41
                                        ; implicit-def: $vgpr60_vgpr61
                                        ; implicit-def: $vgpr44_vgpr45
                                        ; implicit-def: $vgpr64_vgpr65
                                        ; implicit-def: $vgpr48_vgpr49
                                        ; implicit-def: $vgpr56_vgpr57
                                        ; implicit-def: $vgpr8_vgpr9
	s_xor_b64 exec, exec, s[6:7]
	s_cbranch_execz .LBB0_15
; %bb.12:
	s_add_u32 s0, s16, s14
	s_mov_b32 s14, 0x253c826
	s_addc_u32 s1, s17, s15
	v_mul_hi_u32 v1, v0, s14
	s_load_dwordx2 s[0:1], s[0:1], 0x0
                                        ; implicit-def: $vgpr66_vgpr67
                                        ; implicit-def: $vgpr70_vgpr71
	v_mul_u32_u24_e32 v1, 0x6e, v1
	v_sub_u32_e32 v78, v0, v1
	s_waitcnt lgkmcnt(0)
	v_mul_lo_u32 v8, s1, v76
	v_mad_u64_u32 v[0:1], s[14:15], s2, v78, 0
	v_mul_lo_u32 v9, s0, v77
	v_mad_u64_u32 v[2:3], s[0:1], s0, v76, 0
	v_add_u32_e32 v10, 0x25d, v78
	v_add_u32_e32 v83, 0x6e, v78
	v_mad_u64_u32 v[6:7], s[0:1], s3, v78, v[1:2]
	v_add3_u32 v3, v3, v9, v8
	v_lshlrev_b64 v[2:3], 4, v[2:3]
	v_mov_b32_e32 v1, v6
	v_mov_b32_e32 v6, s9
	v_add_co_u32_e64 v8, s[0:1], s8, v2
	v_addc_co_u32_e64 v9, s[0:1], v6, v3, s[0:1]
	v_mad_u64_u32 v[6:7], s[0:1], s2, v10, 0
	v_lshlrev_b64 v[2:3], 4, v[4:5]
	v_lshlrev_b64 v[0:1], 4, v[0:1]
	v_add_co_u32_e64 v4, s[0:1], v8, v2
	v_mov_b32_e32 v2, v7
	v_addc_co_u32_e64 v5, s[0:1], v9, v3, s[0:1]
	v_mad_u64_u32 v[2:3], s[0:1], s3, v10, v[2:3]
	v_mad_u64_u32 v[8:9], s[0:1], s2, v83, 0
	v_mov_b32_e32 v7, v2
	v_add_co_u32_e64 v0, s[0:1], v4, v0
	v_lshlrev_b64 v[2:3], 4, v[6:7]
	v_mov_b32_e32 v6, v9
	v_addc_co_u32_e64 v1, s[0:1], v5, v1, s[0:1]
	v_mad_u64_u32 v[6:7], s[0:1], s3, v83, v[6:7]
	v_add_u32_e32 v12, 0x2cb, v78
	v_mad_u64_u32 v[10:11], s[0:1], s2, v12, 0
	v_mov_b32_e32 v9, v6
	v_add_co_u32_e64 v2, s[0:1], v4, v2
	v_lshlrev_b64 v[6:7], 4, v[8:9]
	v_mov_b32_e32 v8, v11
	v_add_u32_e32 v80, 0xdc, v78
	v_addc_co_u32_e64 v3, s[0:1], v5, v3, s[0:1]
	v_mad_u64_u32 v[8:9], s[0:1], s3, v12, v[8:9]
	v_mad_u64_u32 v[12:13], s[0:1], s2, v80, 0
	v_add_co_u32_e64 v14, s[0:1], v4, v6
	v_mov_b32_e32 v11, v8
	v_mov_b32_e32 v8, v13
	v_addc_co_u32_e64 v15, s[0:1], v5, v7, s[0:1]
	v_lshlrev_b64 v[6:7], 4, v[10:11]
	v_mad_u64_u32 v[8:9], s[0:1], s3, v80, v[8:9]
	v_add_u32_e32 v11, 0x339, v78
	v_mad_u64_u32 v[9:10], s[0:1], s2, v11, 0
	v_add_co_u32_e64 v16, s[0:1], v4, v6
	v_mov_b32_e32 v13, v8
	v_mov_b32_e32 v8, v10
	v_addc_co_u32_e64 v17, s[0:1], v5, v7, s[0:1]
	v_mad_u64_u32 v[10:11], s[0:1], s3, v11, v[8:9]
	v_add_u32_e32 v81, 0x14a, v78
	v_lshlrev_b64 v[6:7], 4, v[12:13]
	v_mad_u64_u32 v[11:12], s[0:1], s2, v81, 0
	v_add_co_u32_e64 v18, s[0:1], v4, v6
	v_mov_b32_e32 v8, v12
	v_addc_co_u32_e64 v19, s[0:1], v5, v7, s[0:1]
	v_lshlrev_b64 v[6:7], 4, v[9:10]
	v_mad_u64_u32 v[8:9], s[0:1], s3, v81, v[8:9]
	v_add_u32_e32 v13, 0x3a7, v78
	v_mad_u64_u32 v[9:10], s[0:1], s2, v13, 0
	v_add_co_u32_e64 v20, s[0:1], v4, v6
	v_mov_b32_e32 v12, v8
	v_mov_b32_e32 v8, v10
	v_addc_co_u32_e64 v21, s[0:1], v5, v7, s[0:1]
	v_lshlrev_b64 v[6:7], 4, v[11:12]
	v_mad_u64_u32 v[10:11], s[0:1], s3, v13, v[8:9]
	v_add_u32_e32 v82, 0x1b8, v78
	v_mad_u64_u32 v[11:12], s[0:1], s2, v82, 0
	v_add_co_u32_e64 v22, s[0:1], v4, v6
	v_mov_b32_e32 v8, v12
	v_addc_co_u32_e64 v23, s[0:1], v5, v7, s[0:1]
	v_lshlrev_b64 v[6:7], 4, v[9:10]
	v_mad_u64_u32 v[8:9], s[0:1], s3, v82, v[8:9]
	v_add_u32_e32 v9, 0x415, v78
	v_mad_u64_u32 v[24:25], s[0:1], s2, v9, 0
	v_add_co_u32_e64 v26, s[0:1], v4, v6
	v_mov_b32_e32 v12, v8
	v_mov_b32_e32 v8, v25
	v_addc_co_u32_e64 v27, s[0:1], v5, v7, s[0:1]
	v_lshlrev_b64 v[6:7], 4, v[11:12]
	v_mad_u64_u32 v[10:11], s[0:1], s3, v9, v[8:9]
	v_add_co_u32_e64 v11, s[0:1], v4, v6
	v_mov_b32_e32 v25, v10
	v_addc_co_u32_e64 v12, s[0:1], v5, v7, s[0:1]
	global_load_dwordx4 v[6:9], v[0:1], off
	global_load_dwordx4 v[54:57], v[2:3], off
	v_lshlrev_b64 v[0:1], 4, v[24:25]
	v_add_co_u32_e64 v24, s[0:1], v4, v0
	v_addc_co_u32_e64 v25, s[0:1], v5, v1, s[0:1]
	global_load_dwordx4 v[46:49], v[14:15], off
	global_load_dwordx4 v[62:65], v[16:17], off
	;; [unrolled: 1-line block ×8, first 2 shown]
	v_cmp_gt_u32_e64 s[0:1], 55, v78
	s_and_saveexec_b64 s[8:9], s[0:1]
	s_cbranch_execz .LBB0_14
; %bb.13:
	v_add_u32_e32 v14, 0x226, v78
	v_add_u32_e32 v16, 0x483, v78
	v_mad_u64_u32 v[10:11], s[0:1], s2, v14, 0
	v_mad_u64_u32 v[12:13], s[0:1], s2, v16, 0
	v_mad_u64_u32 v[14:15], s[0:1], s3, v14, v[11:12]
	v_mov_b32_e32 v11, v14
	v_mad_u64_u32 v[13:14], s[0:1], s3, v16, v[13:14]
	v_lshlrev_b64 v[10:11], 4, v[10:11]
	v_add_co_u32_e64 v10, s[0:1], v4, v10
	v_lshlrev_b64 v[12:13], 4, v[12:13]
	v_addc_co_u32_e64 v11, s[0:1], v5, v11, s[0:1]
	v_add_co_u32_e64 v4, s[0:1], v4, v12
	v_addc_co_u32_e64 v5, s[0:1], v5, v13, s[0:1]
	global_load_dwordx4 v[66:69], v[10:11], off
	global_load_dwordx4 v[70:73], v[4:5], off
.LBB0_14:
	s_or_b64 exec, exec, s[8:9]
	v_mov_b32_e32 v104, v78
.LBB0_15:
	s_or_b64 exec, exec, s[6:7]
	s_waitcnt vmcnt(8)
	v_add_f64 v[13:14], v[6:7], -v[54:55]
	s_waitcnt vmcnt(6)
	v_add_f64 v[17:18], v[46:47], -v[62:63]
	;; [unrolled: 2-line block ×4, first 2 shown]
	v_add_f64 v[21:22], v[42:43], -v[58:59]
	v_lshl_add_u32 v10, v78, 4, 0
	v_add_u32_e32 v0, 0x226, v78
	v_lshl_add_u32 v50, v83, 4, 0
	v_fma_f64 v[11:12], v[6:7], 2.0, -v[13:14]
	v_add_f64 v[6:7], v[66:67], -v[70:71]
	v_fma_f64 v[15:16], v[46:47], 2.0, -v[17:18]
	v_fma_f64 v[23:24], v[38:39], 2.0, -v[25:26]
	;; [unrolled: 1-line block ×4, first 2 shown]
	v_lshl_add_u32 v70, v80, 4, 0
	v_lshl_add_u32 v39, v81, 4, 0
	ds_write_b128 v10, v[11:14]
	ds_write_b128 v50, v[15:18]
	;; [unrolled: 1-line block ×3, first 2 shown]
	v_fma_f64 v[4:5], v[66:67], 2.0, -v[6:7]
	v_lshl_add_u32 v38, v82, 4, 0
	v_cmp_gt_u32_e64 s[2:3], 55, v78
	v_lshl_add_u32 v11, v0, 4, 0
	ds_write_b128 v39, v[23:26]
	ds_write_b128 v38, v[27:30]
	s_and_saveexec_b64 s[0:1], s[2:3]
	s_cbranch_execz .LBB0_17
; %bb.16:
	ds_write_b128 v11, v[4:7]
.LBB0_17:
	s_or_b64 exec, exec, s[0:1]
	v_lshlrev_b32_e32 v1, 3, v78
	v_sub_u32_e32 v28, v10, v1
	v_add_u32_e32 v0, 0x800, v28
	s_waitcnt lgkmcnt(0)
	s_barrier
	ds_read2_b64 v[16:19], v0 offset0:96 offset1:228
	v_add_u32_e32 v0, 0x1000, v28
	ds_read2_b64 v[24:27], v0 offset0:82 offset1:214
	v_add_u32_e32 v0, 0x1800, v28
	ds_read2_b64 v[20:23], v0 offset0:68 offset1:200
	v_lshlrev_b32_e32 v0, 3, v83
	v_sub_u32_e32 v29, v50, v0
	ds_read2_b64 v[12:15], v28 offset1:242
	ds_read_b64 v[58:59], v29
	ds_read_b64 v[62:63], v28 offset:8624
	v_sub_u32_e32 v1, 0, v1
	v_cmp_gt_u32_e64 s[0:1], 22, v78
	v_add_u32_e32 v79, v10, v1
	v_lshlrev_b32_e32 v66, 3, v80
                                        ; implicit-def: $vgpr30_vgpr31
                                        ; implicit-def: $vgpr34_vgpr35
	s_and_saveexec_b64 s[6:7], s[0:1]
	s_cbranch_execz .LBB0_19
; %bb.18:
	v_sub_u32_e32 v1, v70, v66
	ds_read_b64 v[4:5], v1
	v_add_u32_e32 v1, 0xe40, v79
	ds_read2_b64 v[32:35], v1 offset0:6 offset1:248
	v_add_u32_e32 v1, 0x1d80, v79
	ds_read2_b64 v[28:31], v1 offset0:2 offset1:244
	s_waitcnt lgkmcnt(1)
	v_mov_b32_e32 v6, v32
	v_mov_b32_e32 v7, v33
.LBB0_19:
	s_or_b64 exec, exec, s[6:7]
	v_add_f64 v[54:55], v[8:9], -v[56:57]
	v_add_f64 v[90:91], v[36:37], -v[2:3]
	;; [unrolled: 1-line block ×6, first 2 shown]
	v_sub_u32_e32 v32, 0, v0
	s_waitcnt lgkmcnt(0)
	v_fma_f64 v[52:53], v[8:9], 2.0, -v[54:55]
	v_fma_f64 v[88:89], v[36:37], 2.0, -v[90:91]
	;; [unrolled: 1-line block ×6, first 2 shown]
	s_barrier
	ds_write_b128 v10, v[52:55]
	ds_write_b128 v50, v[84:87]
	;; [unrolled: 1-line block ×5, first 2 shown]
	s_and_saveexec_b64 s[6:7], s[2:3]
	s_cbranch_execz .LBB0_21
; %bb.20:
	ds_write_b128 v11, v[0:3]
.LBB0_21:
	s_or_b64 exec, exec, s[6:7]
	v_add_u32_e32 v33, 0x800, v79
	s_waitcnt lgkmcnt(0)
	s_barrier
	ds_read2_b64 v[36:39], v33 offset0:96 offset1:228
	v_add_u32_e32 v33, 0x1000, v79
	ds_read2_b64 v[44:47], v33 offset0:82 offset1:214
	v_add_u32_e32 v33, 0x1800, v79
	v_add_u32_e32 v72, v50, v32
	ds_read2_b64 v[8:11], v79 offset1:242
	ds_read2_b64 v[40:43], v33 offset0:68 offset1:200
	ds_read_b64 v[32:33], v72
	ds_read_b64 v[56:57], v79 offset:8624
                                        ; implicit-def: $vgpr50_vgpr51
                                        ; implicit-def: $vgpr54_vgpr55
	s_and_saveexec_b64 s[2:3], s[0:1]
	s_cbranch_execz .LBB0_23
; %bb.22:
	v_add_u32_e32 v2, 0xe40, v79
	ds_read2_b64 v[52:55], v2 offset0:6 offset1:248
	v_sub_u32_e32 v0, v70, v66
	v_add_u32_e32 v2, 0x1d80, v79
	ds_read_b64 v[0:1], v0
	ds_read2_b64 v[48:51], v2 offset0:2 offset1:244
	s_waitcnt lgkmcnt(2)
	v_mov_b32_e32 v2, v52
	v_mov_b32_e32 v3, v53
.LBB0_23:
	s_or_b64 exec, exec, s[2:3]
	v_and_b32_e32 v73, 1, v78
	v_lshlrev_b32_e32 v52, 6, v73
	global_load_dwordx4 v[64:67], v52, s[12:13] offset:16
	global_load_dwordx4 v[85:88], v52, s[12:13] offset:32
	global_load_dwordx4 v[89:92], v52, s[12:13]
	global_load_dwordx4 v[93:96], v52, s[12:13] offset:48
	v_lshrrev_b32_e32 v53, 1, v83
	v_mul_lo_u32 v53, v53, 10
	v_lshrrev_b32_e32 v52, 1, v78
	v_mul_u32_u24_e32 v52, 10, v52
	v_or_b32_e32 v52, v52, v73
	v_lshl_add_u32 v83, v52, 3, 0
	v_or_b32_e32 v52, v53, v73
	v_lshl_add_u32 v84, v52, 3, 0
	s_mov_b32 s8, 0x134454ff
	s_mov_b32 s9, 0xbfee6f0e
	s_mov_b32 s17, 0x3fee6f0e
	s_mov_b32 s16, s8
	s_mov_b32 s6, 0x4755a5e
	s_mov_b32 s7, 0xbfe2cf23
	s_mov_b32 s15, 0x3fe2cf23
	s_mov_b32 s14, s6
	s_mov_b32 s2, 0x372fe950
	s_mov_b32 s3, 0x3fd3c6ef
	s_waitcnt vmcnt(0) lgkmcnt(0)
	s_barrier
	v_mul_f64 v[68:69], v[38:39], v[66:67]
	v_mul_f64 v[101:102], v[46:47], v[87:88]
	;; [unrolled: 1-line block ×16, first 2 shown]
	v_fma_f64 v[66:67], v[18:19], v[64:65], v[68:69]
	v_fma_f64 v[68:69], v[26:27], v[85:86], v[101:102]
	v_mul_f64 v[105:106], v[26:27], v[87:88]
	v_mul_f64 v[119:120], v[48:49], v[87:88]
	;; [unrolled: 1-line block ×3, first 2 shown]
	v_fma_f64 v[52:53], v[34:35], v[64:65], v[52:53]
	v_fma_f64 v[34:35], v[54:55], v[64:65], -v[60:61]
	v_fma_f64 v[60:61], v[38:39], v[64:65], -v[70:71]
	v_fma_f64 v[70:71], v[22:23], v[93:94], v[111:112]
	v_fma_f64 v[22:23], v[20:21], v[85:86], v[113:114]
	v_fma_f64 v[20:21], v[42:43], v[93:94], -v[115:116]
	v_fma_f64 v[42:43], v[14:15], v[89:90], v[125:126]
	v_mul_f64 v[121:122], v[50:51], v[95:96]
	v_mul_f64 v[123:124], v[30:31], v[95:96]
	;; [unrolled: 1-line block ×3, first 2 shown]
	v_fma_f64 v[54:55], v[24:25], v[64:65], v[97:98]
	v_fma_f64 v[18:19], v[44:45], v[64:65], -v[99:100]
	v_fma_f64 v[64:65], v[16:17], v[89:90], v[107:108]
	v_fma_f64 v[14:15], v[62:63], v[93:94], v[127:128]
	v_fma_f64 v[44:45], v[36:37], v[89:90], -v[109:110]
	v_fma_f64 v[16:17], v[40:41], v[85:86], -v[117:118]
	;; [unrolled: 1-line block ×3, first 2 shown]
	v_add_f64 v[36:37], v[66:67], v[68:69]
	v_fma_f64 v[46:47], v[46:47], v[85:86], -v[105:106]
	v_fma_f64 v[26:27], v[48:49], v[85:86], -v[87:88]
	v_add_f64 v[38:39], v[42:43], v[70:71]
	v_add_f64 v[48:49], v[12:13], v[42:43]
	v_fma_f64 v[30:31], v[30:31], v[93:94], v[121:122]
	v_fma_f64 v[24:25], v[50:51], v[93:94], -v[123:124]
	v_fma_f64 v[10:11], v[56:57], v[93:94], -v[95:96]
	v_add_f64 v[50:51], v[42:43], -v[66:67]
	v_add_f64 v[56:57], v[70:71], -v[68:69]
	;; [unrolled: 1-line block ×4, first 2 shown]
	v_add_f64 v[99:100], v[64:65], v[14:15]
	v_add_f64 v[101:102], v[54:55], v[22:23]
	v_add_f64 v[62:63], v[40:41], -v[20:21]
	v_add_f64 v[95:96], v[54:55], -v[64:65]
	;; [unrolled: 1-line block ×3, first 2 shown]
	v_fma_f64 v[36:37], v[36:37], -0.5, v[12:13]
	v_fma_f64 v[28:29], v[28:29], v[85:86], v[119:120]
	v_add_f64 v[85:86], v[60:61], -v[46:47]
	v_fma_f64 v[12:13], v[38:39], -0.5, v[12:13]
	v_add_f64 v[38:39], v[48:49], v[66:67]
	v_add_f64 v[105:106], v[18:19], -v[16:17]
	v_add_f64 v[107:108], v[44:45], -v[10:11]
	;; [unrolled: 1-line block ×4, first 2 shown]
	v_add_f64 v[113:114], v[58:59], v[64:65]
	v_add_f64 v[48:49], v[50:51], v[56:57]
	;; [unrolled: 1-line block ×3, first 2 shown]
	v_fma_f64 v[87:88], v[99:100], -0.5, v[58:59]
	v_fma_f64 v[58:59], v[101:102], -0.5, v[58:59]
	v_add_f64 v[56:57], v[95:96], v[97:98]
	v_fma_f64 v[97:98], v[62:63], s[8:9], v[36:37]
	v_add_f64 v[38:39], v[38:39], v[68:69]
	v_fma_f64 v[99:100], v[85:86], s[16:17], v[12:13]
	v_fma_f64 v[12:13], v[85:86], s[8:9], v[12:13]
	;; [unrolled: 1-line block ×3, first 2 shown]
	v_add_f64 v[93:94], v[109:110], v[111:112]
	v_add_f64 v[95:96], v[113:114], v[54:55]
	v_fma_f64 v[101:102], v[105:106], s[16:17], v[87:88]
	v_fma_f64 v[87:88], v[105:106], s[8:9], v[87:88]
	;; [unrolled: 1-line block ×5, first 2 shown]
	v_mul_f64 v[131:132], v[2:3], v[91:92]
	v_mul_f64 v[91:92], v[6:7], v[91:92]
	v_add_f64 v[111:112], v[38:39], v[70:71]
	v_fma_f64 v[38:39], v[62:63], s[6:7], v[99:100]
	v_fma_f64 v[12:13], v[62:63], s[14:15], v[12:13]
	;; [unrolled: 1-line block ×3, first 2 shown]
	v_add_f64 v[95:96], v[95:96], v[22:23]
	v_fma_f64 v[62:63], v[107:108], s[6:7], v[101:102]
	v_fma_f64 v[85:86], v[107:108], s[14:15], v[87:88]
	;; [unrolled: 1-line block ×9, first 2 shown]
	v_fma_f64 v[36:37], v[2:3], v[89:90], -v[91:92]
	v_add_f64 v[95:96], v[95:96], v[14:15]
	v_fma_f64 v[50:51], v[56:57], s[2:3], v[62:63]
	v_fma_f64 v[62:63], v[93:94], s[2:3], v[87:88]
	;; [unrolled: 1-line block ×4, first 2 shown]
	ds_write2_b64 v83, v[111:112], v[97:98] offset1:2
	ds_write2_b64 v83, v[99:100], v[12:13] offset0:4 offset1:6
	ds_write_b64 v83, v[48:49] offset:64
	ds_write2_b64 v84, v[95:96], v[62:63] offset1:2
	ds_write2_b64 v84, v[50:51], v[56:57] offset0:4 offset1:6
	ds_write_b64 v84, v[58:59] offset:64
	v_lshrrev_b32_e32 v48, 1, v80
	s_and_saveexec_b64 s[18:19], s[0:1]
	s_cbranch_execz .LBB0_25
; %bb.24:
	v_add_f64 v[2:3], v[38:39], v[30:31]
	v_add_f64 v[6:7], v[52:53], v[28:29]
	v_add_f64 v[12:13], v[34:35], -v[26:27]
	v_add_f64 v[49:50], v[4:5], v[38:39]
	v_add_f64 v[56:57], v[36:37], -v[24:25]
	v_add_f64 v[58:59], v[28:29], -v[30:31]
	v_add_f64 v[62:63], v[38:39], -v[52:53]
	v_add_f64 v[85:86], v[30:31], -v[28:29]
	v_fma_f64 v[2:3], v[2:3], -0.5, v[4:5]
	v_fma_f64 v[4:5], v[6:7], -0.5, v[4:5]
	v_add_f64 v[6:7], v[52:53], -v[38:39]
	v_add_f64 v[49:50], v[49:50], v[52:53]
	v_mul_lo_u32 v51, v48, 10
	v_or_b32_e32 v51, v51, v73
	v_fma_f64 v[87:88], v[12:13], s[8:9], v[2:3]
	v_fma_f64 v[2:3], v[12:13], s[16:17], v[2:3]
	;; [unrolled: 1-line block ×4, first 2 shown]
	v_add_f64 v[6:7], v[6:7], v[58:59]
	v_add_f64 v[58:59], v[62:63], v[85:86]
	;; [unrolled: 1-line block ×3, first 2 shown]
	v_lshl_add_u32 v51, v51, 3, 0
	v_fma_f64 v[62:63], v[56:57], s[14:15], v[87:88]
	v_fma_f64 v[2:3], v[56:57], s[6:7], v[2:3]
	;; [unrolled: 1-line block ×4, first 2 shown]
	v_add_f64 v[12:13], v[49:50], v[30:31]
	v_fma_f64 v[49:50], v[6:7], s[2:3], v[62:63]
	v_fma_f64 v[2:3], v[6:7], s[2:3], v[2:3]
	;; [unrolled: 1-line block ×4, first 2 shown]
	ds_write2_b64 v51, v[12:13], v[6:7] offset1:2
	ds_write2_b64 v51, v[2:3], v[49:50] offset0:4 offset1:6
	ds_write_b64 v51, v[4:5] offset:64
.LBB0_25:
	s_or_b64 exec, exec, s[18:19]
	v_add_f64 v[2:3], v[60:61], v[46:47]
	v_add_f64 v[4:5], v[8:9], v[40:41]
	v_add_f64 v[6:7], v[42:43], -v[70:71]
	v_add_f64 v[56:57], v[40:41], v[20:21]
	v_add_f64 v[12:13], v[66:67], -v[68:69]
	v_add_f64 v[42:43], v[40:41], -v[60:61]
	;; [unrolled: 1-line block ×3, first 2 shown]
	v_add_f64 v[66:67], v[18:19], v[16:17]
	v_fma_f64 v[2:3], v[2:3], -0.5, v[8:9]
	v_add_f64 v[4:5], v[4:5], v[60:61]
	v_add_f64 v[22:23], v[54:55], -v[22:23]
	v_fma_f64 v[8:9], v[56:57], -0.5, v[8:9]
	v_add_f64 v[56:57], v[44:45], v[10:11]
	v_add_f64 v[40:41], v[60:61], -v[40:41]
	v_add_f64 v[58:59], v[46:47], -v[20:21]
	v_add_f64 v[62:63], v[32:33], v[44:45]
	v_fma_f64 v[54:55], v[6:7], s[16:17], v[2:3]
	v_add_f64 v[14:15], v[64:65], -v[14:15]
	v_add_f64 v[42:43], v[42:43], v[49:50]
	v_fma_f64 v[49:50], v[66:67], -0.5, v[32:33]
	v_add_f64 v[4:5], v[4:5], v[46:47]
	v_fma_f64 v[2:3], v[6:7], s[8:9], v[2:3]
	v_fma_f64 v[46:47], v[12:13], s[8:9], v[8:9]
	v_fma_f64 v[32:33], v[56:57], -0.5, v[32:33]
	v_fma_f64 v[54:55], v[12:13], s[14:15], v[54:55]
	v_add_f64 v[40:41], v[40:41], v[58:59]
	v_add_f64 v[58:59], v[62:63], v[18:19]
	v_fma_f64 v[8:9], v[12:13], s[16:17], v[8:9]
	v_fma_f64 v[56:57], v[14:15], s[16:17], v[49:50]
	v_add_f64 v[60:61], v[4:5], v[20:21]
	v_fma_f64 v[2:3], v[12:13], s[6:7], v[2:3]
	v_fma_f64 v[4:5], v[6:7], s[14:15], v[46:47]
	;; [unrolled: 1-line block ×3, first 2 shown]
	v_add_f64 v[12:13], v[44:45], -v[18:19]
	v_add_f64 v[20:21], v[10:11], -v[16:17]
	v_fma_f64 v[49:50], v[14:15], s[8:9], v[49:50]
	v_fma_f64 v[54:55], v[22:23], s[8:9], v[32:33]
	v_add_f64 v[18:19], v[18:19], -v[44:45]
	v_add_f64 v[44:45], v[16:17], -v[10:11]
	v_fma_f64 v[32:33], v[22:23], s[16:17], v[32:33]
	v_fma_f64 v[6:7], v[6:7], s[6:7], v[8:9]
	v_add_f64 v[8:9], v[58:59], v[16:17]
	v_fma_f64 v[16:17], v[22:23], s[14:15], v[56:57]
	v_add_f64 v[12:13], v[12:13], v[20:21]
	v_fma_f64 v[20:21], v[22:23], s[6:7], v[49:50]
	v_fma_f64 v[22:23], v[14:15], s[14:15], v[54:55]
	v_add_f64 v[18:19], v[18:19], v[44:45]
	v_fma_f64 v[14:15], v[14:15], s[6:7], v[32:33]
	v_lshl_add_u32 v32, v80, 3, 0
	v_fma_f64 v[49:50], v[40:41], s[2:3], v[4:5]
	v_fma_f64 v[54:55], v[40:41], s[2:3], v[6:7]
	v_add_f64 v[56:57], v[8:9], v[10:11]
	v_fma_f64 v[58:59], v[12:13], s[2:3], v[16:17]
	v_fma_f64 v[62:63], v[12:13], s[2:3], v[20:21]
	;; [unrolled: 1-line block ×4, first 2 shown]
	s_waitcnt lgkmcnt(0)
	s_barrier
	ds_read_b64 v[12:13], v79 offset:8800
	ds_read_b64 v[10:11], v79
	ds_read_b64 v[14:15], v72
	v_lshl_add_u32 v33, v81, 3, 0
	v_lshl_add_u32 v40, v82, 3, 0
	;; [unrolled: 1-line block ×3, first 2 shown]
	ds_read_b64 v[22:23], v32
	ds_read_b64 v[20:21], v33
	;; [unrolled: 1-line block ×3, first 2 shown]
	ds_read_b64 v[16:17], v41 offset:4400
	v_fma_f64 v[44:45], v[42:43], s[2:3], v[2:3]
	v_add_u32_e32 v42, 0x1400, v79
	v_add_u32_e32 v43, 0x1800, v79
	ds_read2_b64 v[6:9], v42 offset0:20 offset1:130
	ds_read2_b64 v[2:5], v43 offset0:112 offset1:222
	s_waitcnt lgkmcnt(0)
	s_barrier
	ds_write2_b64 v83, v[60:61], v[46:47] offset1:2
	ds_write2_b64 v83, v[49:50], v[54:55] offset0:4 offset1:6
	ds_write_b64 v83, v[44:45] offset:64
	ds_write2_b64 v84, v[56:57], v[58:59] offset1:2
	ds_write2_b64 v84, v[64:65], v[66:67] offset0:4 offset1:6
	ds_write_b64 v84, v[62:63] offset:64
	s_and_saveexec_b64 s[2:3], s[0:1]
	s_cbranch_execz .LBB0_27
; %bb.26:
	v_add_f64 v[44:45], v[34:35], v[26:27]
	v_add_f64 v[30:31], v[38:39], -v[30:31]
	v_add_f64 v[38:39], v[36:37], v[24:25]
	v_add_f64 v[46:47], v[0:1], v[36:37]
	v_add_f64 v[28:29], v[52:53], -v[28:29]
	s_mov_b32 s0, 0x134454ff
	s_mov_b32 s1, 0x3fee6f0e
	v_add_f64 v[49:50], v[36:37], -v[34:35]
	v_fma_f64 v[44:45], v[44:45], -0.5, v[0:1]
	v_add_f64 v[51:52], v[24:25], -v[26:27]
	v_fma_f64 v[0:1], v[38:39], -0.5, v[0:1]
	s_mov_b32 s9, 0xbfee6f0e
	v_add_f64 v[36:37], v[34:35], -v[36:37]
	v_add_f64 v[34:35], v[46:47], v[34:35]
	s_mov_b32 s8, s0
	v_add_f64 v[46:47], v[26:27], -v[24:25]
	v_fma_f64 v[38:39], v[30:31], s[0:1], v[44:45]
	v_fma_f64 v[44:45], v[30:31], s[8:9], v[44:45]
	;; [unrolled: 1-line block ×4, first 2 shown]
	s_mov_b32 s6, 0x4755a5e
	s_mov_b32 s7, 0x3fe2cf23
	v_add_f64 v[49:50], v[49:50], v[51:52]
	v_add_f64 v[26:27], v[34:35], v[26:27]
	v_fma_f64 v[34:35], v[28:29], s[6:7], v[38:39]
	s_mov_b32 s1, 0xbfe2cf23
	s_mov_b32 s0, s6
	v_fma_f64 v[38:39], v[30:31], s[6:7], v[53:54]
	v_add_f64 v[36:37], v[36:37], v[46:47]
	v_fma_f64 v[0:1], v[30:31], s[0:1], v[0:1]
	v_fma_f64 v[28:29], v[28:29], s[0:1], v[44:45]
	s_mov_b32 s0, 0x372fe950
	s_mov_b32 s1, 0x3fd3c6ef
	v_add_f64 v[24:25], v[26:27], v[24:25]
	v_fma_f64 v[26:27], v[49:50], s[0:1], v[34:35]
	v_mul_lo_u32 v34, v48, 10
	v_fma_f64 v[30:31], v[36:37], s[0:1], v[38:39]
	v_fma_f64 v[0:1], v[36:37], s[0:1], v[0:1]
	;; [unrolled: 1-line block ×3, first 2 shown]
	v_or_b32_e32 v34, v34, v73
	v_lshl_add_u32 v34, v34, 3, 0
	ds_write2_b64 v34, v[24:25], v[26:27] offset1:2
	ds_write2_b64 v34, v[30:31], v[0:1] offset0:4 offset1:6
	ds_write_b64 v34, v[28:29] offset:64
.LBB0_27:
	s_or_b64 exec, exec, s[2:3]
	s_movk_i32 s0, 0xcd
	v_mul_lo_u16_sdwa v0, v78, s0 dst_sel:DWORD dst_unused:UNUSED_PAD src0_sel:BYTE_0 src1_sel:DWORD
	v_lshrrev_b16_e32 v0, 11, v0
	v_mul_lo_u16_e32 v1, 10, v0
	v_sub_u16_e32 v1, v78, v1
	v_mov_b32_e32 v24, 10
	v_mul_u32_u24_sdwa v24, v1, v24 dst_sel:DWORD dst_unused:UNUSED_PAD src0_sel:BYTE_0 src1_sel:DWORD
	v_lshlrev_b32_e32 v38, 4, v24
	s_waitcnt lgkmcnt(0)
	s_barrier
	global_load_dwordx4 v[24:27], v38, s[12:13] offset:128
	global_load_dwordx4 v[28:31], v38, s[12:13] offset:144
	;; [unrolled: 1-line block ×10, first 2 shown]
	ds_read_b64 v[38:39], v72
	ds_read_b64 v[88:89], v32
	;; [unrolled: 1-line block ×4, first 2 shown]
	ds_read_b64 v[94:95], v41 offset:4400
	ds_read2_b64 v[80:83], v42 offset0:20 offset1:130
	ds_read2_b64 v[84:87], v43 offset0:112 offset1:222
	ds_read_b64 v[96:97], v79
	ds_read_b64 v[98:99], v79 offset:8800
	s_mov_b32 s2, 0xf8bb580b
	s_mov_b32 s0, 0x8764f0ba
	;; [unrolled: 1-line block ×30, first 2 shown]
	v_mul_u32_u24_e32 v0, 0x370, v0
	s_waitcnt vmcnt(0) lgkmcnt(0)
	s_barrier
	v_mul_f64 v[100:101], v[38:39], v[26:27]
	v_mul_f64 v[26:27], v[14:15], v[26:27]
	;; [unrolled: 1-line block ×12, first 2 shown]
	v_fma_f64 v[14:15], v[14:15], v[24:25], v[100:101]
	v_fma_f64 v[24:25], v[38:39], v[24:25], -v[26:27]
	v_mul_f64 v[107:108], v[92:93], v[46:47]
	v_mul_f64 v[46:47], v[18:19], v[46:47]
	;; [unrolled: 1-line block ×6, first 2 shown]
	v_fma_f64 v[22:23], v[22:23], v[28:29], v[102:103]
	v_fma_f64 v[26:27], v[88:89], v[28:29], -v[30:31]
	v_fma_f64 v[20:21], v[20:21], v[34:35], v[105:106]
	v_fma_f64 v[28:29], v[90:91], v[34:35], -v[36:37]
	;; [unrolled: 2-line block ×5, first 2 shown]
	v_add_f64 v[50:51], v[10:11], v[14:15]
	v_add_f64 v[52:53], v[96:97], v[24:25]
	v_fma_f64 v[30:31], v[92:93], v[44:45], -v[46:47]
	v_fma_f64 v[38:39], v[82:83], v[56:57], -v[58:59]
	v_fma_f64 v[2:3], v[2:3], v[60:61], v[115:116]
	v_fma_f64 v[46:47], v[84:85], v[60:61], -v[62:63]
	v_add_f64 v[58:59], v[22:23], v[4:5]
	v_add_f64 v[60:61], v[26:27], v[48:49]
	v_add_f64 v[62:63], v[22:23], -v[4:5]
	v_add_f64 v[64:65], v[26:27], -v[48:49]
	v_add_f64 v[22:23], v[50:51], v[22:23]
	v_add_f64 v[26:27], v[52:53], v[26:27]
	v_fma_f64 v[18:19], v[18:19], v[44:45], v[107:108]
	v_mul_f64 v[119:120], v[98:99], v[70:71]
	v_mul_f64 v[70:71], v[12:13], v[70:71]
	v_fma_f64 v[8:9], v[8:9], v[56:57], v[113:114]
	v_mul_f64 v[88:89], v[60:61], s[6:7]
	v_mul_f64 v[86:87], v[64:65], s[8:9]
	v_add_f64 v[22:23], v[22:23], v[20:21]
	v_add_f64 v[26:27], v[26:27], v[28:29]
	v_fma_f64 v[12:13], v[12:13], v[68:69], v[119:120]
	v_fma_f64 v[44:45], v[98:99], v[68:69], -v[70:71]
	v_add_f64 v[22:23], v[22:23], v[18:19]
	v_add_f64 v[26:27], v[26:27], v[30:31]
	;; [unrolled: 1-line block ×4, first 2 shown]
	v_add_f64 v[24:25], v[24:25], -v[44:45]
	v_add_f64 v[14:15], v[14:15], -v[12:13]
	v_add_f64 v[22:23], v[22:23], v[16:17]
	v_add_f64 v[26:27], v[26:27], v[34:35]
	v_mul_f64 v[52:53], v[56:57], s[0:1]
	v_mul_f64 v[50:51], v[24:25], s[2:3]
	;; [unrolled: 1-line block ×4, first 2 shown]
	v_add_f64 v[22:23], v[22:23], v[6:7]
	v_add_f64 v[26:27], v[26:27], v[36:37]
	v_mul_f64 v[70:71], v[24:25], s[16:17]
	v_mul_f64 v[80:81], v[56:57], s[14:15]
	;; [unrolled: 1-line block ×6, first 2 shown]
	v_add_f64 v[22:23], v[22:23], v[8:9]
	v_add_f64 v[26:27], v[26:27], v[38:39]
	v_fma_f64 v[90:91], v[54:55], s[0:1], v[50:51]
	v_fma_f64 v[92:93], v[14:15], s[24:25], v[52:53]
	;; [unrolled: 1-line block ×6, first 2 shown]
	v_fma_f64 v[70:71], v[54:55], s[14:15], -v[70:71]
	v_fma_f64 v[105:106], v[54:55], s[18:19], v[82:83]
	v_add_f64 v[22:23], v[22:23], v[2:3]
	v_add_f64 v[26:27], v[26:27], v[46:47]
	v_fma_f64 v[50:51], v[54:55], s[0:1], -v[50:51]
	v_fma_f64 v[52:53], v[14:15], s[2:3], v[52:53]
	v_fma_f64 v[66:67], v[54:55], s[6:7], -v[66:67]
	v_fma_f64 v[68:69], v[14:15], s[8:9], v[68:69]
	v_fma_f64 v[80:81], v[14:15], s[16:17], v[80:81]
	;; [unrolled: 1-line block ×3, first 2 shown]
	v_fma_f64 v[82:83], v[54:55], s[18:19], -v[82:83]
	v_fma_f64 v[84:85], v[14:15], s[26:27], v[84:85]
	v_fma_f64 v[109:110], v[54:55], s[22:23], v[24:25]
	;; [unrolled: 1-line block ×3, first 2 shown]
	v_fma_f64 v[24:25], v[54:55], s[22:23], -v[24:25]
	v_fma_f64 v[14:15], v[14:15], s[28:29], v[56:57]
	v_add_f64 v[54:55], v[10:11], v[90:91]
	v_add_f64 v[56:57], v[96:97], v[92:93]
	;; [unrolled: 1-line block ×10, first 2 shown]
	v_mul_f64 v[100:101], v[64:65], s[26:27]
	v_mul_f64 v[102:103], v[60:61], s[18:19]
	v_fma_f64 v[105:106], v[58:59], s[6:7], v[86:87]
	v_add_f64 v[50:51], v[10:11], v[50:51]
	v_add_f64 v[52:53], v[96:97], v[52:53]
	;; [unrolled: 1-line block ×12, first 2 shown]
	v_fma_f64 v[107:108], v[62:63], s[36:37], v[88:89]
	v_add_f64 v[10:11], v[10:11], v[24:25]
	v_add_f64 v[14:15], v[96:97], v[14:15]
	v_fma_f64 v[24:25], v[58:59], s[6:7], -v[86:87]
	v_fma_f64 v[86:87], v[62:63], s[8:9], v[88:89]
	v_fma_f64 v[88:89], v[58:59], s[18:19], v[100:101]
	;; [unrolled: 1-line block ×3, first 2 shown]
	v_add_f64 v[54:55], v[105:106], v[54:55]
	v_mul_f64 v[105:106], v[64:65], s[34:35]
	v_add_f64 v[56:57], v[107:108], v[56:57]
	v_mul_f64 v[107:108], v[60:61], s[22:23]
	v_add_f64 v[24:25], v[24:25], v[50:51]
	v_add_f64 v[50:51], v[86:87], v[52:53]
	;; [unrolled: 1-line block ×4, first 2 shown]
	v_fma_f64 v[88:89], v[58:59], s[18:19], -v[100:101]
	v_fma_f64 v[92:93], v[58:59], s[22:23], v[105:106]
	v_mul_f64 v[100:101], v[64:65], s[30:31]
	v_fma_f64 v[90:91], v[62:63], s[26:27], v[102:103]
	v_fma_f64 v[96:97], v[62:63], s[28:29], v[107:108]
	v_mul_f64 v[102:103], v[60:61], s[14:15]
	v_mul_f64 v[64:65], v[64:65], s[24:25]
	;; [unrolled: 1-line block ×3, first 2 shown]
	v_add_f64 v[66:67], v[88:89], v[66:67]
	v_add_f64 v[88:89], v[92:93], v[94:95]
	v_fma_f64 v[92:93], v[58:59], s[14:15], v[100:101]
	v_add_f64 v[68:69], v[90:91], v[68:69]
	v_add_f64 v[90:91], v[96:97], v[98:99]
	v_fma_f64 v[94:95], v[62:63], s[16:17], v[102:103]
	v_fma_f64 v[96:97], v[58:59], s[14:15], -v[100:101]
	v_fma_f64 v[98:99], v[62:63], s[30:31], v[102:103]
	v_fma_f64 v[105:106], v[58:59], s[22:23], -v[105:106]
	v_fma_f64 v[107:108], v[62:63], s[34:35], v[107:108]
	v_add_f64 v[70:71], v[92:93], v[70:71]
	v_add_f64 v[92:93], v[28:29], -v[46:47]
	v_add_f64 v[28:29], v[28:29], v[46:47]
	v_add_f64 v[80:81], v[94:95], v[80:81]
	;; [unrolled: 1-line block ×4, first 2 shown]
	v_fma_f64 v[84:85], v[58:59], s[0:1], v[64:65]
	v_fma_f64 v[94:95], v[62:63], s[2:3], v[60:61]
	v_add_f64 v[96:97], v[20:21], v[2:3]
	v_add_f64 v[2:3], v[20:21], -v[2:3]
	v_mul_f64 v[20:21], v[92:93], s[16:17]
	v_mul_f64 v[98:99], v[28:29], s[14:15]
	v_fma_f64 v[58:59], v[58:59], s[0:1], -v[64:65]
	v_fma_f64 v[60:61], v[62:63], s[24:25], v[60:61]
	v_mul_f64 v[62:63], v[92:93], s[34:35]
	v_mul_f64 v[64:65], v[28:29], s[22:23]
	v_add_f64 v[12:13], v[84:85], v[12:13]
	v_add_f64 v[22:23], v[94:95], v[22:23]
	v_fma_f64 v[84:85], v[96:97], s[14:15], v[20:21]
	v_fma_f64 v[94:95], v[2:3], s[30:31], v[98:99]
	v_add_f64 v[10:11], v[58:59], v[10:11]
	v_add_f64 v[14:15], v[60:61], v[14:15]
	v_fma_f64 v[20:21], v[96:97], s[14:15], -v[20:21]
	v_fma_f64 v[58:59], v[2:3], s[16:17], v[98:99]
	v_fma_f64 v[60:61], v[96:97], s[22:23], v[62:63]
	;; [unrolled: 1-line block ×3, first 2 shown]
	v_add_f64 v[54:55], v[84:85], v[54:55]
	v_mul_f64 v[84:85], v[92:93], s[36:37]
	v_add_f64 v[26:27], v[105:106], v[26:27]
	v_add_f64 v[56:57], v[94:95], v[56:57]
	;; [unrolled: 1-line block ×6, first 2 shown]
	v_fma_f64 v[58:59], v[96:97], s[22:23], -v[62:63]
	v_mul_f64 v[86:87], v[92:93], s[2:3]
	v_fma_f64 v[60:61], v[2:3], s[34:35], v[64:65]
	v_fma_f64 v[62:63], v[96:97], s[6:7], v[84:85]
	v_mul_f64 v[98:99], v[28:29], s[0:1]
	v_fma_f64 v[84:85], v[96:97], s[6:7], -v[84:85]
	v_mul_f64 v[94:95], v[28:29], s[6:7]
	v_mul_f64 v[28:29], v[28:29], s[18:19]
	v_add_f64 v[58:59], v[58:59], v[66:67]
	v_fma_f64 v[66:67], v[96:97], s[0:1], v[86:87]
	v_add_f64 v[60:61], v[60:61], v[68:69]
	v_add_f64 v[62:63], v[62:63], v[88:89]
	v_fma_f64 v[68:69], v[2:3], s[24:25], v[98:99]
	v_add_f64 v[26:27], v[84:85], v[26:27]
	v_mul_f64 v[84:85], v[92:93], s[26:27]
	v_fma_f64 v[86:87], v[96:97], s[0:1], -v[86:87]
	v_fma_f64 v[88:89], v[2:3], s[2:3], v[98:99]
	v_add_f64 v[66:67], v[66:67], v[70:71]
	v_add_f64 v[70:71], v[30:31], -v[38:39]
	v_add_f64 v[30:31], v[30:31], v[38:39]
	v_fma_f64 v[64:65], v[2:3], s[8:9], v[94:95]
	v_fma_f64 v[94:95], v[2:3], s[36:37], v[94:95]
	v_add_f64 v[68:69], v[68:69], v[80:81]
	v_fma_f64 v[38:39], v[96:97], s[18:19], v[84:85]
	v_fma_f64 v[80:81], v[2:3], s[38:39], v[28:29]
	v_add_f64 v[46:47], v[86:87], v[46:47]
	v_add_f64 v[82:83], v[88:89], v[82:83]
	;; [unrolled: 1-line block ×3, first 2 shown]
	v_add_f64 v[8:9], v[18:19], -v[8:9]
	v_mul_f64 v[18:19], v[70:71], s[26:27]
	v_mul_f64 v[88:89], v[30:31], s[18:19]
	v_fma_f64 v[2:3], v[2:3], s[26:27], v[28:29]
	v_mul_f64 v[28:29], v[70:71], s[30:31]
	v_add_f64 v[64:65], v[64:65], v[90:91]
	v_add_f64 v[12:13], v[38:39], v[12:13]
	;; [unrolled: 1-line block ×3, first 2 shown]
	v_fma_f64 v[38:39], v[96:97], s[18:19], -v[84:85]
	v_mul_f64 v[80:81], v[30:31], s[14:15]
	v_fma_f64 v[84:85], v[86:87], s[18:19], v[18:19]
	v_fma_f64 v[90:91], v[8:9], s[38:39], v[88:89]
	v_fma_f64 v[18:19], v[86:87], s[18:19], -v[18:19]
	v_fma_f64 v[88:89], v[8:9], s[26:27], v[88:89]
	v_add_f64 v[2:3], v[2:3], v[14:15]
	v_fma_f64 v[14:15], v[86:87], s[14:15], v[28:29]
	v_add_f64 v[48:49], v[107:108], v[48:49]
	v_add_f64 v[10:11], v[38:39], v[10:11]
	v_fma_f64 v[38:39], v[8:9], s[16:17], v[80:81]
	v_add_f64 v[54:55], v[84:85], v[54:55]
	v_add_f64 v[18:19], v[18:19], v[20:21]
	;; [unrolled: 1-line block ×3, first 2 shown]
	v_mul_f64 v[24:25], v[70:71], s[2:3]
	v_mul_f64 v[84:85], v[30:31], s[0:1]
	v_add_f64 v[14:15], v[14:15], v[50:51]
	v_mul_f64 v[50:51], v[70:71], s[28:29]
	v_add_f64 v[48:49], v[94:95], v[48:49]
	v_add_f64 v[56:57], v[90:91], v[56:57]
	;; [unrolled: 1-line block ×3, first 2 shown]
	v_mul_f64 v[52:53], v[30:31], s[22:23]
	v_fma_f64 v[88:89], v[86:87], s[0:1], v[24:25]
	v_fma_f64 v[90:91], v[8:9], s[24:25], v[84:85]
	v_fma_f64 v[24:25], v[86:87], s[0:1], -v[24:25]
	v_fma_f64 v[84:85], v[8:9], s[2:3], v[84:85]
	v_fma_f64 v[92:93], v[86:87], s[22:23], v[50:51]
	v_fma_f64 v[28:29], v[86:87], s[14:15], -v[28:29]
	v_fma_f64 v[80:81], v[8:9], s[30:31], v[80:81]
	v_fma_f64 v[94:95], v[8:9], s[34:35], v[52:53]
	v_mul_f64 v[30:31], v[30:31], s[6:7]
	v_fma_f64 v[50:51], v[86:87], s[22:23], -v[50:51]
	v_add_f64 v[24:25], v[24:25], v[26:27]
	v_add_f64 v[26:27], v[84:85], v[48:49]
	;; [unrolled: 1-line block ×3, first 2 shown]
	v_add_f64 v[66:67], v[34:35], -v[36:37]
	v_add_f64 v[34:35], v[34:35], v[36:37]
	v_add_f64 v[28:29], v[28:29], v[58:59]
	;; [unrolled: 1-line block ×6, first 2 shown]
	v_mul_f64 v[36:37], v[70:71], s[36:37]
	v_fma_f64 v[52:53], v[8:9], s[28:29], v[52:53]
	v_add_f64 v[68:69], v[16:17], v[6:7]
	v_add_f64 v[6:7], v[16:17], -v[6:7]
	v_mul_f64 v[16:17], v[66:67], s[28:29]
	v_mul_f64 v[70:71], v[34:35], s[22:23]
	v_fma_f64 v[84:85], v[8:9], s[8:9], v[30:31]
	v_add_f64 v[46:47], v[50:51], v[46:47]
	v_fma_f64 v[80:81], v[86:87], s[6:7], v[36:37]
	v_add_f64 v[50:51], v[52:53], v[82:83]
	v_fma_f64 v[36:37], v[86:87], s[6:7], -v[36:37]
	v_fma_f64 v[8:9], v[8:9], s[36:37], v[30:31]
	v_fma_f64 v[30:31], v[68:69], s[22:23], v[16:17]
	;; [unrolled: 1-line block ×3, first 2 shown]
	v_mul_f64 v[82:83], v[34:35], s[0:1]
	v_fma_f64 v[16:17], v[68:69], s[22:23], -v[16:17]
	v_add_f64 v[12:13], v[80:81], v[12:13]
	v_mul_f64 v[80:81], v[66:67], s[24:25]
	v_add_f64 v[10:11], v[36:37], v[10:11]
	v_add_f64 v[2:3], v[8:9], v[2:3]
	;; [unrolled: 1-line block ×4, first 2 shown]
	v_fma_f64 v[36:37], v[6:7], s[28:29], v[70:71]
	v_mul_f64 v[56:57], v[66:67], s[26:27]
	v_fma_f64 v[54:55], v[6:7], s[2:3], v[82:83]
	v_fma_f64 v[52:53], v[68:69], s[0:1], v[80:81]
	;; [unrolled: 1-line block ×3, first 2 shown]
	v_add_f64 v[16:17], v[16:17], v[18:19]
	v_mul_f64 v[70:71], v[34:35], s[18:19]
	v_fma_f64 v[80:81], v[68:69], s[0:1], -v[80:81]
	v_add_f64 v[18:19], v[36:37], v[20:21]
	v_fma_f64 v[20:21], v[68:69], s[18:19], v[56:57]
	v_add_f64 v[36:37], v[54:55], v[38:39]
	v_add_f64 v[14:15], v[52:53], v[14:15]
	;; [unrolled: 1-line block ×3, first 2 shown]
	v_fma_f64 v[54:55], v[68:69], s[18:19], -v[56:57]
	v_mul_f64 v[58:59], v[66:67], s[36:37]
	v_fma_f64 v[38:39], v[6:7], s[38:39], v[70:71]
	v_fma_f64 v[56:57], v[6:7], s[26:27], v[70:71]
	v_add_f64 v[20:21], v[20:21], v[60:61]
	v_mul_f64 v[60:61], v[66:67], s[16:17]
	v_mul_f64 v[70:71], v[34:35], s[6:7]
	;; [unrolled: 1-line block ×3, first 2 shown]
	v_add_f64 v[24:25], v[54:55], v[24:25]
	v_fma_f64 v[54:55], v[68:69], s[6:7], v[58:59]
	v_fma_f64 v[58:59], v[68:69], s[6:7], -v[58:59]
	v_add_f64 v[38:39], v[38:39], v[62:63]
	v_add_f64 v[26:27], v[56:57], v[26:27]
	v_fma_f64 v[66:67], v[68:69], s[14:15], v[60:61]
	v_fma_f64 v[60:61], v[68:69], s[14:15], -v[60:61]
	v_fma_f64 v[56:57], v[6:7], s[8:9], v[70:71]
	v_fma_f64 v[62:63], v[6:7], s[36:37], v[70:71]
	;; [unrolled: 1-line block ×4, first 2 shown]
	v_add_f64 v[22:23], v[84:85], v[22:23]
	v_add_f64 v[34:35], v[54:55], v[48:49]
	;; [unrolled: 1-line block ×8, first 2 shown]
	v_mov_b32_e32 v2, 3
	v_lshlrev_b32_sdwa v1, v2, v1 dst_sel:DWORD dst_unused:UNUSED_PAD src0_sel:DWORD src1_sel:BYTE_0
	v_add3_u32 v58, 0, v0, v1
	v_add_f64 v[54:55], v[70:71], v[22:23]
	ds_write2_b64 v58, v[4:5], v[8:9] offset1:10
	ds_write2_b64 v58, v[14:15], v[20:21] offset0:20 offset1:30
	ds_write2_b64 v58, v[34:35], v[12:13] offset0:40 offset1:50
	;; [unrolled: 1-line block ×4, first 2 shown]
	ds_write_b64 v58, v[16:17] offset:800
	s_waitcnt lgkmcnt(0)
	s_barrier
	ds_read_b64 v[8:9], v79 offset:8800
	ds_read_b64 v[16:17], v79
	ds_read_b64 v[10:11], v72
	;; [unrolled: 1-line block ×5, first 2 shown]
	ds_read_b64 v[22:23], v41 offset:4400
	ds_read2_b64 v[4:7], v42 offset0:20 offset1:130
	ds_read2_b64 v[0:3], v43 offset0:112 offset1:222
	v_add_f64 v[50:51], v[62:63], v[50:51]
	s_waitcnt lgkmcnt(0)
	s_barrier
	ds_write2_b64 v58, v[44:45], v[30:31] offset1:10
	ds_write2_b64 v58, v[36:37], v[38:39] offset0:20 offset1:30
	ds_write2_b64 v58, v[48:49], v[54:55] offset0:40 offset1:50
	;; [unrolled: 1-line block ×4, first 2 shown]
	ds_write_b64 v58, v[18:19] offset:800
	s_waitcnt lgkmcnt(0)
	s_barrier
	s_and_saveexec_b64 s[38:39], vcc
	s_cbranch_execz .LBB0_29
; %bb.28:
	v_mul_u32_u24_e32 v18, 10, v78
	v_lshlrev_b32_e32 v18, 4, v18
	global_load_dwordx4 v[24:27], v18, s[12:13] offset:1792
	global_load_dwordx4 v[28:31], v18, s[12:13] offset:1808
	;; [unrolled: 1-line block ×10, first 2 shown]
	v_add_u32_e32 v34, 0x1400, v79
	v_add_u32_e32 v35, 0x1800, v79
	ds_read_b64 v[44:45], v41 offset:4400
	ds_read_b64 v[46:47], v40
	ds_read_b64 v[96:97], v33
	;; [unrolled: 1-line block ×5, first 2 shown]
	ds_read_b64 v[78:79], v79 offset:8800
	ds_read2_b64 v[88:91], v34 offset0:20 offset1:130
	ds_read2_b64 v[92:95], v35 offset0:112 offset1:222
	s_waitcnt vmcnt(9)
	v_mul_f64 v[32:33], v[22:23], v[24:25]
	s_waitcnt vmcnt(8)
	v_mul_f64 v[34:35], v[4:5], v[28:29]
	v_mul_f64 v[4:5], v[4:5], v[30:31]
	s_waitcnt vmcnt(7)
	v_mul_f64 v[48:49], v[20:21], v[36:37]
	s_waitcnt vmcnt(6)
	v_mul_f64 v[50:51], v[6:7], v[52:53]
	v_mul_f64 v[20:21], v[20:21], v[38:39]
	;; [unrolled: 1-line block ×3, first 2 shown]
	s_waitcnt vmcnt(2)
	v_mul_f64 v[107:108], v[2:3], v[68:69]
	v_mul_f64 v[2:3], v[2:3], v[70:71]
	s_waitcnt vmcnt(1)
	v_mul_f64 v[109:110], v[10:11], v[80:81]
	s_waitcnt vmcnt(0)
	v_mul_f64 v[111:112], v[8:9], v[84:85]
	v_mul_f64 v[100:101], v[14:15], v[56:57]
	;; [unrolled: 1-line block ×7, first 2 shown]
	s_waitcnt lgkmcnt(1)
	v_fma_f64 v[34:35], v[88:89], v[30:31], v[34:35]
	v_fma_f64 v[40:41], v[88:89], v[28:29], -v[4:5]
	v_fma_f64 v[30:31], v[90:91], v[54:55], v[50:51]
	v_fma_f64 v[50:51], v[46:47], v[36:37], -v[20:21]
	s_waitcnt lgkmcnt(0)
	v_fma_f64 v[28:29], v[94:95], v[68:69], -v[2:3]
	v_fma_f64 v[68:69], v[72:73], v[82:83], v[109:110]
	v_fma_f64 v[20:21], v[78:79], v[86:87], v[111:112]
	v_mul_f64 v[6:7], v[6:7], v[54:55]
	v_mul_f64 v[12:13], v[12:13], v[66:67]
	v_fma_f64 v[42:43], v[44:45], v[26:27], v[32:33]
	v_fma_f64 v[44:45], v[44:45], v[24:25], -v[22:23]
	v_fma_f64 v[54:55], v[96:97], v[58:59], v[100:101]
	v_fma_f64 v[32:33], v[92:93], v[60:61], -v[0:1]
	v_fma_f64 v[60:61], v[98:99], v[66:67], v[105:106]
	v_fma_f64 v[22:23], v[94:95], v[70:71], v[107:108]
	v_fma_f64 v[72:73], v[72:73], v[80:81], -v[10:11]
	v_fma_f64 v[24:25], v[78:79], v[84:85], -v[8:9]
	v_add_f64 v[100:101], v[68:69], -v[20:21]
	v_mul_f64 v[14:15], v[14:15], v[58:59]
	v_fma_f64 v[26:27], v[92:93], v[62:63], v[102:103]
	v_fma_f64 v[62:63], v[98:99], v[64:65], -v[12:13]
	v_fma_f64 v[48:49], v[46:47], v[38:39], v[48:49]
	v_add_f64 v[102:103], v[60:61], -v[22:23]
	v_add_f64 v[84:85], v[68:69], v[20:21]
	v_add_f64 v[92:93], v[72:73], -v[24:25]
	v_add_f64 v[78:79], v[72:73], v[24:25]
	v_mul_f64 v[0:1], v[100:101], s[28:29]
	v_fma_f64 v[56:57], v[96:97], v[56:57], -v[14:15]
	v_add_f64 v[96:97], v[54:55], -v[26:27]
	v_add_f64 v[70:71], v[62:63], v[28:29]
	v_add_f64 v[88:89], v[62:63], -v[28:29]
	v_mul_f64 v[4:5], v[102:103], s[24:25]
	v_mul_f64 v[2:3], v[92:93], s[28:29]
	v_fma_f64 v[36:37], v[90:91], v[52:53], -v[6:7]
	v_fma_f64 v[125:126], v[78:79], s[22:23], v[0:1]
	v_fma_f64 v[0:1], v[78:79], s[22:23], -v[0:1]
	v_add_f64 v[86:87], v[48:49], -v[30:31]
	v_add_f64 v[52:53], v[56:57], v[32:33]
	v_add_f64 v[90:91], v[56:57], -v[32:33]
	v_add_f64 v[82:83], v[60:61], v[22:23]
	v_mul_f64 v[6:7], v[88:89], s[24:25]
	v_mul_f64 v[8:9], v[96:97], s[26:27]
	v_fma_f64 v[127:128], v[84:85], s[22:23], -v[2:3]
	v_fma_f64 v[129:130], v[70:71], s[0:1], v[4:5]
	v_fma_f64 v[2:3], v[84:85], s[22:23], v[2:3]
	v_fma_f64 v[4:5], v[70:71], s[0:1], -v[4:5]
	v_add_f64 v[0:1], v[18:19], v[0:1]
	v_add_f64 v[66:67], v[42:43], -v[34:35]
	v_add_f64 v[46:47], v[50:51], v[36:37]
	v_add_f64 v[98:99], v[50:51], -v[36:37]
	v_add_f64 v[80:81], v[54:55], v[26:27]
	v_mul_f64 v[10:11], v[90:91], s[26:27]
	v_mul_f64 v[14:15], v[86:87], s[36:37]
	v_mul_f64 v[111:112], v[100:101], s[26:27]
	v_mul_f64 v[113:114], v[92:93], s[26:27]
	v_fma_f64 v[131:132], v[82:83], s[0:1], -v[6:7]
	v_fma_f64 v[6:7], v[82:83], s[0:1], v[6:7]
	v_fma_f64 v[133:134], v[52:53], s[18:19], v[8:9]
	v_fma_f64 v[8:9], v[52:53], s[18:19], -v[8:9]
	v_add_f64 v[125:126], v[18:19], v[125:126]
	v_add_f64 v[127:128], v[16:17], v[127:128]
	;; [unrolled: 1-line block ×5, first 2 shown]
	v_add_f64 v[94:95], v[44:45], -v[40:41]
	v_add_f64 v[64:65], v[48:49], v[30:31]
	v_mul_f64 v[12:13], v[66:67], s[16:17]
	v_mul_f64 v[107:108], v[98:99], s[36:37]
	;; [unrolled: 1-line block ×4, first 2 shown]
	v_fma_f64 v[135:136], v[80:81], s[18:19], -v[10:11]
	v_fma_f64 v[10:11], v[80:81], s[18:19], v[10:11]
	v_fma_f64 v[137:138], v[46:47], s[6:7], v[14:15]
	v_fma_f64 v[14:15], v[46:47], s[6:7], -v[14:15]
	v_fma_f64 v[145:146], v[78:79], s[18:19], v[111:112]
	v_add_f64 v[125:126], v[129:130], v[125:126]
	v_add_f64 v[127:128], v[131:132], v[127:128]
	;; [unrolled: 1-line block ×3, first 2 shown]
	v_fma_f64 v[4:5], v[84:85], s[18:19], -v[113:114]
	v_add_f64 v[0:1], v[8:9], v[0:1]
	v_add_f64 v[58:59], v[42:43], v[34:35]
	v_mul_f64 v[105:106], v[94:95], s[16:17]
	v_mul_f64 v[117:118], v[96:97], s[2:3]
	;; [unrolled: 1-line block ×3, first 2 shown]
	v_fma_f64 v[139:140], v[64:65], s[6:7], -v[107:108]
	v_fma_f64 v[107:108], v[64:65], s[6:7], v[107:108]
	v_fma_f64 v[141:142], v[38:39], s[14:15], v[12:13]
	;; [unrolled: 1-line block ×3, first 2 shown]
	v_fma_f64 v[12:13], v[38:39], s[14:15], -v[12:13]
	v_fma_f64 v[6:7], v[82:83], s[14:15], -v[115:116]
	v_add_f64 v[125:126], v[133:134], v[125:126]
	v_add_f64 v[127:128], v[135:136], v[127:128]
	;; [unrolled: 1-line block ×3, first 2 shown]
	v_fma_f64 v[8:9], v[78:79], s[18:19], -v[111:112]
	v_fma_f64 v[10:11], v[84:85], s[18:19], v[113:114]
	v_add_f64 v[111:112], v[18:19], v[145:146]
	v_add_f64 v[4:5], v[16:17], v[4:5]
	;; [unrolled: 1-line block ×3, first 2 shown]
	v_mul_f64 v[121:122], v[86:87], s[28:29]
	v_mul_f64 v[123:124], v[98:99], s[28:29]
	v_fma_f64 v[143:144], v[58:59], s[14:15], -v[105:106]
	v_fma_f64 v[105:106], v[58:59], s[14:15], v[105:106]
	v_fma_f64 v[129:130], v[52:53], s[0:1], v[117:118]
	v_fma_f64 v[131:132], v[80:81], s[0:1], -v[119:120]
	v_add_f64 v[113:114], v[137:138], v[125:126]
	v_add_f64 v[125:126], v[139:140], v[127:128]
	;; [unrolled: 1-line block ×3, first 2 shown]
	v_fma_f64 v[109:110], v[70:71], s[14:15], -v[109:110]
	v_add_f64 v[8:9], v[18:19], v[8:9]
	v_add_f64 v[111:112], v[147:148], v[111:112]
	;; [unrolled: 1-line block ×4, first 2 shown]
	v_fma_f64 v[12:13], v[82:83], s[14:15], v[115:116]
	v_add_f64 v[10:11], v[16:17], v[10:11]
	v_add_f64 v[2:3], v[141:142], v[113:114]
	;; [unrolled: 1-line block ×3, first 2 shown]
	v_fma_f64 v[107:108], v[46:47], s[22:23], v[121:122]
	v_add_f64 v[14:15], v[129:130], v[111:112]
	v_add_f64 v[105:106], v[131:132], v[127:128]
	v_fma_f64 v[111:112], v[64:65], s[22:23], -v[123:124]
	v_add_f64 v[8:9], v[109:110], v[8:9]
	v_mul_f64 v[109:110], v[66:67], s[36:37]
	v_fma_f64 v[113:114], v[52:53], s[0:1], -v[117:118]
	v_add_f64 v[10:11], v[12:13], v[10:11]
	v_mul_f64 v[12:13], v[100:101], s[16:17]
	v_fma_f64 v[115:116], v[80:81], s[0:1], v[119:120]
	v_add_f64 v[14:15], v[107:108], v[14:15]
	v_mul_f64 v[107:108], v[94:95], s[36:37]
	v_add_f64 v[105:106], v[111:112], v[105:106]
	v_fma_f64 v[111:112], v[38:39], s[6:7], v[109:110]
	v_add_f64 v[113:114], v[113:114], v[8:9]
	v_mul_f64 v[117:118], v[102:103], s[34:35]
	v_fma_f64 v[8:9], v[78:79], s[14:15], v[12:13]
	v_mul_f64 v[119:120], v[92:93], s[16:17]
	v_add_f64 v[0:1], v[143:144], v[125:126]
	v_add_f64 v[115:116], v[115:116], v[10:11]
	v_fma_f64 v[125:126], v[58:59], s[6:7], -v[107:108]
	v_fma_f64 v[121:122], v[46:47], s[22:23], -v[121:122]
	v_add_f64 v[10:11], v[111:112], v[14:15]
	v_mul_f64 v[111:112], v[96:97], s[36:37]
	v_fma_f64 v[14:15], v[70:71], s[22:23], v[117:118]
	v_add_f64 v[127:128], v[18:19], v[8:9]
	v_fma_f64 v[129:130], v[84:85], s[14:15], -v[119:120]
	v_mul_f64 v[131:132], v[88:89], s[34:35]
	v_fma_f64 v[123:124], v[64:65], s[22:23], v[123:124]
	v_add_f64 v[8:9], v[125:126], v[105:106]
	v_fma_f64 v[105:106], v[38:39], s[6:7], -v[109:110]
	v_add_f64 v[109:110], v[121:122], v[113:114]
	v_fma_f64 v[113:114], v[52:53], s[6:7], v[111:112]
	v_add_f64 v[121:122], v[14:15], v[127:128]
	v_mul_f64 v[125:126], v[86:87], s[2:3]
	v_add_f64 v[127:128], v[16:17], v[129:130]
	v_fma_f64 v[129:130], v[82:83], s[22:23], -v[131:132]
	v_mul_f64 v[133:134], v[90:91], s[36:37]
	v_fma_f64 v[107:108], v[58:59], s[6:7], v[107:108]
	v_add_f64 v[115:116], v[123:124], v[115:116]
	v_add_f64 v[14:15], v[105:106], v[109:110]
	;; [unrolled: 1-line block ×3, first 2 shown]
	v_fma_f64 v[12:13], v[78:79], s[14:15], -v[12:13]
	v_fma_f64 v[109:110], v[46:47], s[0:1], v[125:126]
	v_add_f64 v[113:114], v[129:130], v[127:128]
	v_fma_f64 v[119:120], v[84:85], s[14:15], v[119:120]
	v_fma_f64 v[121:122], v[80:81], s[6:7], -v[133:134]
	v_mul_f64 v[123:124], v[98:99], s[2:3]
	v_mul_f64 v[127:128], v[66:67], s[26:27]
	v_fma_f64 v[117:118], v[70:71], s[22:23], -v[117:118]
	v_add_f64 v[129:130], v[18:19], v[12:13]
	v_add_f64 v[12:13], v[107:108], v[115:116]
	v_fma_f64 v[107:108], v[82:83], s[22:23], v[131:132]
	v_add_f64 v[115:116], v[16:17], v[119:120]
	v_add_f64 v[113:114], v[121:122], v[113:114]
	v_fma_f64 v[119:120], v[64:65], s[0:1], -v[123:124]
	v_add_f64 v[105:106], v[109:110], v[105:106]
	v_fma_f64 v[109:110], v[38:39], s[18:19], v[127:128]
	v_mul_f64 v[121:122], v[100:101], s[8:9]
	v_add_f64 v[117:118], v[117:118], v[129:130]
	v_fma_f64 v[111:112], v[52:53], s[6:7], -v[111:112]
	v_add_f64 v[115:116], v[107:108], v[115:116]
	v_fma_f64 v[129:130], v[80:81], s[6:7], v[133:134]
	v_add_f64 v[113:114], v[119:120], v[113:114]
	v_mul_f64 v[119:120], v[92:93], s[8:9]
	v_add_f64 v[107:108], v[109:110], v[105:106]
	v_fma_f64 v[109:110], v[78:79], s[6:7], v[121:122]
	v_mul_f64 v[131:132], v[102:103], s[26:27]
	v_mul_f64 v[105:106], v[94:95], s[26:27]
	v_add_f64 v[111:112], v[111:112], v[117:118]
	v_add_f64 v[115:116], v[129:130], v[115:116]
	v_fma_f64 v[117:118], v[46:47], s[0:1], -v[125:126]
	v_fma_f64 v[125:126], v[84:85], s[6:7], -v[119:120]
	v_mul_f64 v[129:130], v[88:89], s[26:27]
	v_fma_f64 v[123:124], v[64:65], s[0:1], v[123:124]
	v_add_f64 v[109:110], v[18:19], v[109:110]
	v_fma_f64 v[133:134], v[70:71], s[18:19], v[131:132]
	v_mul_f64 v[135:136], v[96:97], s[34:35]
	v_fma_f64 v[137:138], v[58:59], s[18:19], -v[105:106]
	v_add_f64 v[111:112], v[117:118], v[111:112]
	v_add_f64 v[117:118], v[16:17], v[125:126]
	v_fma_f64 v[125:126], v[82:83], s[18:19], -v[129:130]
	v_mul_f64 v[139:140], v[90:91], s[34:35]
	v_add_f64 v[115:116], v[123:124], v[115:116]
	v_add_f64 v[109:110], v[133:134], v[109:110]
	v_fma_f64 v[123:124], v[52:53], s[22:23], v[135:136]
	v_mul_f64 v[133:134], v[86:87], s[30:31]
	v_fma_f64 v[141:142], v[58:59], s[18:19], v[105:106]
	v_fma_f64 v[127:128], v[38:39], s[18:19], -v[127:128]
	v_add_f64 v[117:118], v[125:126], v[117:118]
	v_fma_f64 v[125:126], v[80:81], s[22:23], -v[139:140]
	v_add_f64 v[105:106], v[137:138], v[113:114]
	v_mul_f64 v[113:114], v[98:99], s[30:31]
	v_add_f64 v[123:124], v[123:124], v[109:110]
	v_fma_f64 v[137:138], v[46:47], s[14:15], v[133:134]
	v_add_f64 v[109:110], v[141:142], v[115:116]
	v_fma_f64 v[115:116], v[78:79], s[6:7], -v[121:122]
	v_add_f64 v[111:112], v[127:128], v[111:112]
	v_add_f64 v[117:118], v[125:126], v[117:118]
	v_mul_f64 v[125:126], v[100:101], s[2:3]
	v_fma_f64 v[127:128], v[70:71], s[18:19], -v[131:132]
	v_fma_f64 v[121:122], v[64:65], s[14:15], -v[113:114]
	v_add_f64 v[100:101], v[137:138], v[123:124]
	v_mul_f64 v[123:124], v[66:67], s[24:25]
	v_add_f64 v[115:116], v[18:19], v[115:116]
	v_mul_f64 v[131:132], v[102:103], s[8:9]
	v_mul_f64 v[137:138], v[94:95], s[24:25]
	v_add_f64 v[72:73], v[18:19], v[72:73]
	v_add_f64 v[68:69], v[16:17], v[68:69]
	;; [unrolled: 1-line block ×3, first 2 shown]
	v_fma_f64 v[119:120], v[84:85], s[6:7], v[119:120]
	v_fma_f64 v[102:103], v[38:39], s[0:1], v[123:124]
	v_add_f64 v[115:116], v[127:128], v[115:116]
	v_fma_f64 v[127:128], v[52:53], s[22:23], -v[135:136]
	v_fma_f64 v[129:130], v[82:83], s[18:19], v[129:130]
	v_add_f64 v[72:73], v[62:63], v[72:73]
	v_add_f64 v[60:61], v[60:61], v[68:69]
	v_fma_f64 v[121:122], v[78:79], s[0:1], v[125:126]
	v_add_f64 v[119:120], v[16:17], v[119:120]
	v_add_f64 v[102:103], v[102:103], v[100:101]
	v_fma_f64 v[100:101], v[58:59], s[0:1], -v[137:138]
	v_add_f64 v[115:116], v[127:128], v[115:116]
	v_fma_f64 v[127:128], v[46:47], s[14:15], -v[133:134]
	;; [unrolled: 2-line block ×3, first 2 shown]
	v_add_f64 v[121:122], v[18:19], v[121:122]
	v_add_f64 v[119:120], v[129:130], v[119:120]
	v_fma_f64 v[129:130], v[80:81], s[22:23], v[139:140]
	v_add_f64 v[100:101], v[100:101], v[117:118]
	v_fma_f64 v[117:118], v[38:39], s[0:1], -v[123:124]
	v_add_f64 v[115:116], v[127:128], v[115:116]
	v_add_f64 v[50:51], v[50:51], v[56:57]
	v_fma_f64 v[135:136], v[70:71], s[6:7], v[131:132]
	v_mul_f64 v[96:97], v[96:97], s[16:17]
	v_add_f64 v[18:19], v[18:19], v[78:79]
	v_add_f64 v[119:120], v[129:130], v[119:120]
	v_fma_f64 v[113:114], v[64:65], s[14:15], v[113:114]
	v_mul_f64 v[86:87], v[86:87], s[26:27]
	v_add_f64 v[62:63], v[117:118], v[115:116]
	v_mul_lo_u32 v117, s5, v76
	v_mul_lo_u32 v118, s4, v77
	v_mad_u64_u32 v[72:73], s[4:5], s4, v76, 0
	v_mul_f64 v[76:77], v[92:93], s[2:3]
	v_add_f64 v[92:93], v[54:55], v[60:61]
	v_add_f64 v[44:45], v[44:45], v[50:51]
	;; [unrolled: 1-line block ×3, first 2 shown]
	v_fma_f64 v[129:130], v[52:53], s[14:15], v[96:97]
	v_mul_f64 v[56:57], v[88:89], s[8:9]
	v_add_f64 v[113:114], v[113:114], v[119:120]
	v_mul_f64 v[66:67], v[66:67], s[28:29]
	v_fma_f64 v[88:89], v[84:85], s[0:1], -v[76:77]
	v_add_f64 v[48:49], v[48:49], v[92:93]
	v_add_f64 v[40:41], v[40:41], v[44:45]
	v_fma_f64 v[76:77], v[84:85], s[0:1], v[76:77]
	v_add_f64 v[119:120], v[129:130], v[121:122]
	v_fma_f64 v[121:122], v[46:47], s[18:19], v[86:87]
	v_mul_f64 v[90:91], v[90:91], s[16:17]
	v_fma_f64 v[50:51], v[82:83], s[6:7], -v[56:57]
	v_add_f64 v[84:85], v[16:17], v[88:89]
	v_add_f64 v[42:43], v[42:43], v[48:49]
	v_fma_f64 v[48:49], v[70:71], s[6:7], -v[131:132]
	v_add_f64 v[36:37], v[36:37], v[40:41]
	v_fma_f64 v[56:57], v[82:83], s[6:7], v[56:57]
	v_add_f64 v[16:17], v[16:17], v[76:77]
	v_add_f64 v[68:69], v[121:122], v[119:120]
	v_fma_f64 v[115:116], v[38:39], s[22:23], v[66:67]
	v_mul_f64 v[92:93], v[98:99], s[26:27]
	v_add_f64 v[34:35], v[34:35], v[42:43]
	v_fma_f64 v[42:43], v[52:53], s[14:15], -v[96:97]
	v_add_f64 v[18:19], v[48:49], v[18:19]
	v_add_f64 v[32:33], v[32:33], v[36:37]
	v_fma_f64 v[48:49], v[80:81], s[14:15], v[90:91]
	v_add_f64 v[16:17], v[56:57], v[16:17]
	v_add_f64 v[54:55], v[115:116], v[68:69]
	v_mul_f64 v[68:69], v[94:95], s[28:29]
	v_add_f64 v[30:31], v[30:31], v[34:35]
	v_fma_f64 v[34:35], v[46:47], s[18:19], -v[86:87]
	v_add_f64 v[18:19], v[42:43], v[18:19]
	v_add_f64 v[28:29], v[28:29], v[32:33]
	v_fma_f64 v[42:43], v[64:65], s[18:19], v[92:93]
	v_add_f64 v[16:17], v[48:49], v[16:17]
	v_fma_f64 v[123:124], v[58:59], s[0:1], v[137:138]
	v_mad_u64_u32 v[32:33], s[0:1], s20, v104, 0
	v_add_f64 v[26:27], v[26:27], v[30:31]
	v_fma_f64 v[30:31], v[38:39], s[22:23], -v[66:67]
	v_add_f64 v[18:19], v[34:35], v[18:19]
	v_add3_u32 v73, v73, v118, v117
	v_fma_f64 v[34:35], v[58:59], s[22:23], v[68:69]
	v_add_f64 v[16:17], v[42:43], v[16:17]
	v_add_f64 v[60:61], v[123:124], v[113:114]
	v_fma_f64 v[44:45], v[80:81], s[14:15], -v[90:91]
	v_add_f64 v[26:27], v[22:23], v[26:27]
	v_mov_b32_e32 v22, v33
	v_add_f64 v[18:19], v[30:31], v[18:19]
	v_mad_u64_u32 v[30:31], s[0:1], s21, v104, v[22:23]
	v_add_f64 v[22:23], v[24:25], v[28:29]
	v_lshlrev_b64 v[24:25], 4, v[72:73]
	v_mov_b32_e32 v33, v30
	v_add_f64 v[20:21], v[20:21], v[26:27]
	v_mov_b32_e32 v26, s11
	v_add_co_u32_e32 v27, vcc, s10, v24
	v_addc_co_u32_e32 v26, vcc, v26, v25, vcc
	v_lshlrev_b64 v[24:25], 4, v[74:75]
	v_add_u32_e32 v28, 0x6e, v104
	v_add_co_u32_e32 v30, vcc, v27, v24
	v_addc_co_u32_e32 v31, vcc, v26, v25, vcc
	v_mad_u64_u32 v[26:27], s[0:1], s20, v28, 0
	v_add_f64 v[16:17], v[34:35], v[16:17]
	v_lshlrev_b64 v[24:25], 4, v[32:33]
	v_mad_u64_u32 v[27:28], s[0:1], s21, v28, v[27:28]
	v_add_co_u32_e32 v24, vcc, v30, v24
	v_addc_co_u32_e32 v25, vcc, v31, v25, vcc
	v_add_u32_e32 v32, 0xdc, v104
	v_mad_u64_u32 v[28:29], s[0:1], s20, v32, 0
	global_store_dwordx4 v[24:25], v[20:23], off
	v_add_f64 v[50:51], v[50:51], v[84:85]
	v_lshlrev_b64 v[20:21], 4, v[26:27]
	v_mov_b32_e32 v22, v29
	v_add_co_u32_e32 v20, vcc, v30, v20
	v_addc_co_u32_e32 v21, vcc, v31, v21, vcc
	global_store_dwordx4 v[20:21], v[16:19], off
	v_add_u32_e32 v20, 0x14a, v104
	v_mad_u64_u32 v[22:23], s[0:1], s21, v32, v[22:23]
	v_mad_u64_u32 v[18:19], s[0:1], s20, v20, 0
	v_mov_b32_e32 v29, v22
	v_add_u32_e32 v22, 0x1b8, v104
	v_mad_u64_u32 v[19:20], s[0:1], s21, v20, v[19:20]
	v_lshlrev_b64 v[16:17], 4, v[28:29]
	v_mad_u64_u32 v[20:21], s[0:1], s20, v22, 0
	v_add_co_u32_e32 v16, vcc, v30, v16
	v_addc_co_u32_e32 v17, vcc, v31, v17, vcc
	global_store_dwordx4 v[16:17], v[60:63], off
	v_lshlrev_b64 v[16:17], 4, v[18:19]
	v_mov_b32_e32 v18, v21
	v_mad_u64_u32 v[18:19], s[0:1], s21, v22, v[18:19]
	v_add_co_u32_e32 v16, vcc, v30, v16
	v_addc_co_u32_e32 v17, vcc, v31, v17, vcc
	v_mov_b32_e32 v21, v18
	global_store_dwordx4 v[16:17], v[109:112], off
	v_lshlrev_b64 v[16:17], 4, v[20:21]
	v_add_u32_e32 v20, 0x226, v104
	v_mad_u64_u32 v[18:19], s[0:1], s20, v20, 0
	v_add_co_u32_e32 v16, vcc, v30, v16
	v_mad_u64_u32 v[19:20], s[0:1], s21, v20, v[19:20]
	v_addc_co_u32_e32 v17, vcc, v31, v17, vcc
	v_add_u32_e32 v22, 0x294, v104
	v_mad_u64_u32 v[20:21], s[0:1], s20, v22, 0
	global_store_dwordx4 v[16:17], v[12:15], off
	v_fma_f64 v[40:41], v[64:65], s[18:19], -v[92:93]
	v_lshlrev_b64 v[12:13], 4, v[18:19]
	v_mov_b32_e32 v14, v21
	v_add_co_u32_e32 v12, vcc, v30, v12
	v_addc_co_u32_e32 v13, vcc, v31, v13, vcc
	global_store_dwordx4 v[12:13], v[4:7], off
	v_add_u32_e32 v12, 0x302, v104
	v_mad_u64_u32 v[14:15], s[0:1], s21, v22, v[14:15]
	v_mad_u64_u32 v[6:7], s[0:1], s20, v12, 0
	v_mov_b32_e32 v21, v14
	v_add_u32_e32 v15, 0x370, v104
	v_mad_u64_u32 v[12:13], s[0:1], s21, v12, v[7:8]
	v_lshlrev_b64 v[4:5], 4, v[20:21]
	v_mad_u64_u32 v[13:14], s[0:1], s20, v15, 0
	v_add_co_u32_e32 v4, vcc, v30, v4
	v_addc_co_u32_e32 v5, vcc, v31, v5, vcc
	v_add_f64 v[44:45], v[44:45], v[50:51]
	global_store_dwordx4 v[4:5], v[0:3], off
	v_add_u32_e32 v4, 0x3de, v104
	v_mov_b32_e32 v2, v14
	v_mad_u64_u32 v[2:3], s[0:1], s21, v15, v[2:3]
	v_mov_b32_e32 v7, v12
	v_lshlrev_b64 v[0:1], 4, v[6:7]
	v_mov_b32_e32 v14, v2
	v_mad_u64_u32 v[2:3], s[0:1], s20, v4, 0
	v_fma_f64 v[36:37], v[58:59], s[22:23], -v[68:69]
	v_add_f64 v[40:41], v[40:41], v[44:45]
	v_add_co_u32_e32 v0, vcc, v30, v0
	v_addc_co_u32_e32 v1, vcc, v31, v1, vcc
	v_mad_u64_u32 v[3:4], s[0:1], s21, v4, v[3:4]
	v_add_u32_e32 v6, 0x44c, v104
	global_store_dwordx4 v[0:1], v[8:11], off
	v_lshlrev_b64 v[0:1], 4, v[13:14]
	v_mad_u64_u32 v[4:5], s[0:1], s20, v6, 0
	v_add_co_u32_e32 v0, vcc, v30, v0
	v_addc_co_u32_e32 v1, vcc, v31, v1, vcc
	global_store_dwordx4 v[0:1], v[105:108], off
	v_lshlrev_b64 v[0:1], 4, v[2:3]
	v_mov_b32_e32 v2, v5
	v_mad_u64_u32 v[2:3], s[0:1], s21, v6, v[2:3]
	v_add_f64 v[52:53], v[36:37], v[40:41]
	v_add_co_u32_e32 v0, vcc, v30, v0
	v_addc_co_u32_e32 v1, vcc, v31, v1, vcc
	v_mov_b32_e32 v5, v2
	global_store_dwordx4 v[0:1], v[100:103], off
	v_lshlrev_b64 v[0:1], 4, v[4:5]
	v_add_co_u32_e32 v0, vcc, v30, v0
	v_addc_co_u32_e32 v1, vcc, v31, v1, vcc
	global_store_dwordx4 v[0:1], v[52:55], off
.LBB0_29:
	s_endpgm
	.section	.rodata,"a",@progbits
	.p2align	6, 0x0
	.amdhsa_kernel fft_rtc_back_len1210_factors_2_5_11_11_wgs_110_tpt_110_halfLds_dp_op_CI_CI_sbrr_dirReg
		.amdhsa_group_segment_fixed_size 0
		.amdhsa_private_segment_fixed_size 0
		.amdhsa_kernarg_size 104
		.amdhsa_user_sgpr_count 6
		.amdhsa_user_sgpr_private_segment_buffer 1
		.amdhsa_user_sgpr_dispatch_ptr 0
		.amdhsa_user_sgpr_queue_ptr 0
		.amdhsa_user_sgpr_kernarg_segment_ptr 1
		.amdhsa_user_sgpr_dispatch_id 0
		.amdhsa_user_sgpr_flat_scratch_init 0
		.amdhsa_user_sgpr_private_segment_size 0
		.amdhsa_uses_dynamic_stack 0
		.amdhsa_system_sgpr_private_segment_wavefront_offset 0
		.amdhsa_system_sgpr_workgroup_id_x 1
		.amdhsa_system_sgpr_workgroup_id_y 0
		.amdhsa_system_sgpr_workgroup_id_z 0
		.amdhsa_system_sgpr_workgroup_info 0
		.amdhsa_system_vgpr_workitem_id 0
		.amdhsa_next_free_vgpr 149
		.amdhsa_next_free_sgpr 40
		.amdhsa_reserve_vcc 1
		.amdhsa_reserve_flat_scratch 0
		.amdhsa_float_round_mode_32 0
		.amdhsa_float_round_mode_16_64 0
		.amdhsa_float_denorm_mode_32 3
		.amdhsa_float_denorm_mode_16_64 3
		.amdhsa_dx10_clamp 1
		.amdhsa_ieee_mode 1
		.amdhsa_fp16_overflow 0
		.amdhsa_exception_fp_ieee_invalid_op 0
		.amdhsa_exception_fp_denorm_src 0
		.amdhsa_exception_fp_ieee_div_zero 0
		.amdhsa_exception_fp_ieee_overflow 0
		.amdhsa_exception_fp_ieee_underflow 0
		.amdhsa_exception_fp_ieee_inexact 0
		.amdhsa_exception_int_div_zero 0
	.end_amdhsa_kernel
	.text
.Lfunc_end0:
	.size	fft_rtc_back_len1210_factors_2_5_11_11_wgs_110_tpt_110_halfLds_dp_op_CI_CI_sbrr_dirReg, .Lfunc_end0-fft_rtc_back_len1210_factors_2_5_11_11_wgs_110_tpt_110_halfLds_dp_op_CI_CI_sbrr_dirReg
                                        ; -- End function
	.section	.AMDGPU.csdata,"",@progbits
; Kernel info:
; codeLenInByte = 11972
; NumSgprs: 44
; NumVgprs: 149
; ScratchSize: 0
; MemoryBound: 1
; FloatMode: 240
; IeeeMode: 1
; LDSByteSize: 0 bytes/workgroup (compile time only)
; SGPRBlocks: 5
; VGPRBlocks: 37
; NumSGPRsForWavesPerEU: 44
; NumVGPRsForWavesPerEU: 149
; Occupancy: 1
; WaveLimiterHint : 1
; COMPUTE_PGM_RSRC2:SCRATCH_EN: 0
; COMPUTE_PGM_RSRC2:USER_SGPR: 6
; COMPUTE_PGM_RSRC2:TRAP_HANDLER: 0
; COMPUTE_PGM_RSRC2:TGID_X_EN: 1
; COMPUTE_PGM_RSRC2:TGID_Y_EN: 0
; COMPUTE_PGM_RSRC2:TGID_Z_EN: 0
; COMPUTE_PGM_RSRC2:TIDIG_COMP_CNT: 0
	.type	__hip_cuid_58c5ea652df7210d,@object ; @__hip_cuid_58c5ea652df7210d
	.section	.bss,"aw",@nobits
	.globl	__hip_cuid_58c5ea652df7210d
__hip_cuid_58c5ea652df7210d:
	.byte	0                               ; 0x0
	.size	__hip_cuid_58c5ea652df7210d, 1

	.ident	"AMD clang version 19.0.0git (https://github.com/RadeonOpenCompute/llvm-project roc-6.4.0 25133 c7fe45cf4b819c5991fe208aaa96edf142730f1d)"
	.section	".note.GNU-stack","",@progbits
	.addrsig
	.addrsig_sym __hip_cuid_58c5ea652df7210d
	.amdgpu_metadata
---
amdhsa.kernels:
  - .args:
      - .actual_access:  read_only
        .address_space:  global
        .offset:         0
        .size:           8
        .value_kind:     global_buffer
      - .offset:         8
        .size:           8
        .value_kind:     by_value
      - .actual_access:  read_only
        .address_space:  global
        .offset:         16
        .size:           8
        .value_kind:     global_buffer
      - .actual_access:  read_only
        .address_space:  global
        .offset:         24
        .size:           8
        .value_kind:     global_buffer
      - .actual_access:  read_only
        .address_space:  global
        .offset:         32
        .size:           8
        .value_kind:     global_buffer
      - .offset:         40
        .size:           8
        .value_kind:     by_value
      - .actual_access:  read_only
        .address_space:  global
        .offset:         48
        .size:           8
        .value_kind:     global_buffer
      - .actual_access:  read_only
        .address_space:  global
        .offset:         56
        .size:           8
        .value_kind:     global_buffer
      - .offset:         64
        .size:           4
        .value_kind:     by_value
      - .actual_access:  read_only
        .address_space:  global
        .offset:         72
        .size:           8
        .value_kind:     global_buffer
      - .actual_access:  read_only
        .address_space:  global
        .offset:         80
        .size:           8
        .value_kind:     global_buffer
      - .actual_access:  read_only
        .address_space:  global
        .offset:         88
        .size:           8
        .value_kind:     global_buffer
      - .actual_access:  write_only
        .address_space:  global
        .offset:         96
        .size:           8
        .value_kind:     global_buffer
    .group_segment_fixed_size: 0
    .kernarg_segment_align: 8
    .kernarg_segment_size: 104
    .language:       OpenCL C
    .language_version:
      - 2
      - 0
    .max_flat_workgroup_size: 110
    .name:           fft_rtc_back_len1210_factors_2_5_11_11_wgs_110_tpt_110_halfLds_dp_op_CI_CI_sbrr_dirReg
    .private_segment_fixed_size: 0
    .sgpr_count:     44
    .sgpr_spill_count: 0
    .symbol:         fft_rtc_back_len1210_factors_2_5_11_11_wgs_110_tpt_110_halfLds_dp_op_CI_CI_sbrr_dirReg.kd
    .uniform_work_group_size: 1
    .uses_dynamic_stack: false
    .vgpr_count:     149
    .vgpr_spill_count: 0
    .wavefront_size: 64
amdhsa.target:   amdgcn-amd-amdhsa--gfx906
amdhsa.version:
  - 1
  - 2
...

	.end_amdgpu_metadata
